;; amdgpu-corpus repo=pytorch/pytorch kind=compiled arch=gfx950 opt=O3
	.amdgcn_target "amdgcn-amd-amdhsa--gfx950"
	.amdhsa_code_object_version 6
	.section	.text._ZN2at6native30tinygemm_m16n8k16_chunk_kernelINS0_10ALayout_RMILNS0_14KReductionTypeE0EEENS0_15BLayout_TC_int4ILi2ELi32EEES4_Li8ELi8EEEvPKvS8_S8_Pviiiiii,"axG",@progbits,_ZN2at6native30tinygemm_m16n8k16_chunk_kernelINS0_10ALayout_RMILNS0_14KReductionTypeE0EEENS0_15BLayout_TC_int4ILi2ELi32EEES4_Li8ELi8EEEvPKvS8_S8_Pviiiiii,comdat
	.protected	_ZN2at6native30tinygemm_m16n8k16_chunk_kernelINS0_10ALayout_RMILNS0_14KReductionTypeE0EEENS0_15BLayout_TC_int4ILi2ELi32EEES4_Li8ELi8EEEvPKvS8_S8_Pviiiiii ; -- Begin function _ZN2at6native30tinygemm_m16n8k16_chunk_kernelINS0_10ALayout_RMILNS0_14KReductionTypeE0EEENS0_15BLayout_TC_int4ILi2ELi32EEES4_Li8ELi8EEEvPKvS8_S8_Pviiiiii
	.globl	_ZN2at6native30tinygemm_m16n8k16_chunk_kernelINS0_10ALayout_RMILNS0_14KReductionTypeE0EEENS0_15BLayout_TC_int4ILi2ELi32EEES4_Li8ELi8EEEvPKvS8_S8_Pviiiiii
	.p2align	8
	.type	_ZN2at6native30tinygemm_m16n8k16_chunk_kernelINS0_10ALayout_RMILNS0_14KReductionTypeE0EEENS0_15BLayout_TC_int4ILi2ELi32EEES4_Li8ELi8EEEvPKvS8_S8_Pviiiiii,@function
_ZN2at6native30tinygemm_m16n8k16_chunk_kernelINS0_10ALayout_RMILNS0_14KReductionTypeE0EEENS0_15BLayout_TC_int4ILi2ELi32EEES4_Li8ELi8EEEvPKvS8_S8_Pviiiiii: ; @_ZN2at6native30tinygemm_m16n8k16_chunk_kernelINS0_10ALayout_RMILNS0_14KReductionTypeE0EEENS0_15BLayout_TC_int4ILi2ELi32EEES4_Li8ELi8EEEvPKvS8_S8_Pviiiiii
; %bb.0:
	s_load_dwordx2 s[6:7], s[0:1], 0x30
	s_load_dwordx4 s[16:19], s[0:1], 0x0
	s_load_dwordx8 s[8:15], s[0:1], 0x10
	v_bfe_u32 v28, v0, 10, 10
	v_and_b32_e32 v26, 0x3ff, v0
	s_waitcnt lgkmcnt(0)
	s_ashr_i32 s0, s7, 31
	s_lshr_b32 s0, s0, 29
	s_add_i32 s0, s7, s0
	v_lshlrev_b32_e32 v0, 3, v28
	s_and_b32 s5, s0, -8
	v_lshl_add_u32 v30, s2, 6, v0
	v_mov_b32_e32 v0, 0
	v_cmp_gt_i32_e32 vcc, s5, v30
	v_mov_b32_e32 v1, v0
	v_mov_b32_e32 v2, v0
	;; [unrolled: 1-line block ×3, first 2 shown]
	v_and_b32_e32 v29, 15, v26
	v_lshrrev_b32_e32 v27, 2, v26
	s_and_saveexec_b64 s[20:21], vcc
	s_cbranch_execz .LBB0_12
; %bb.1:
	v_lshl_or_b32 v1, s4, 4, v29
	s_lshr_b32 s0, s7, 31
	v_mul_lo_u32 v2, s14, v1
	s_add_i32 s0, s7, s0
	v_and_b32_e32 v6, 0xfc, v27
	v_ashrrev_i32_e32 v3, 31, v2
	v_cmp_gt_i32_e32 vcc, s12, v1
	s_ashr_i32 s15, s0, 1
	s_lshl_b32 s22, s6, 5
	s_lshl_b32 s24, s6, 6
	s_mul_i32 s26, s6, 0x60
	s_lshl_b32 s0, s2, 10
	v_lshlrev_b32_e32 v1, 7, v28
	v_lshl_add_u64 v[4:5], v[2:3], 1, s[16:17]
	s_mul_i32 s15, s15, s3
	v_lshl_or_b32 v31, s3, 4, v29
	s_lshl_b32 s30, s6, 4
	s_ashr_i32 s23, s22, 31
	s_ashr_i32 s25, s24, 31
	;; [unrolled: 1-line block ×3, first 2 shown]
	v_add3_u32 v6, s0, v1, v6
	s_mov_b64 s[28:29], 0
	v_mov_b32_e32 v32, 0xf000f
	v_mov_b32_e32 v33, 0x43004300
	s_mov_b32 s2, 0x5040100
	v_mov_b32_e32 v1, v0
	v_mov_b32_e32 v2, v0
	;; [unrolled: 1-line block ×3, first 2 shown]
	s_branch .LBB0_3
.LBB0_2:                                ;   in Loop: Header=BB0_3 Depth=1
	s_or_b64 exec, exec, s[0:1]
	v_ashrrev_i32_e32 v7, 1, v30
	v_add_u32_e32 v24, s15, v7
	v_lshl_add_u32 v24, v24, 6, v26
	v_ashrrev_i32_e32 v25, 31, v24
	v_lshl_add_u64 v[24:25], v[24:25], 2, s[18:19]
	global_load_dword v38, v[24:25], off
	v_mul_lo_u32 v7, s30, v7
	v_add_lshl_u32 v34, v31, v7, 1
	v_ashrrev_i32_e32 v35, 31, v34
	v_lshl_add_u64 v[34:35], v[34:35], 1, s[8:9]
	global_load_dword v7, v[34:35], off
	global_load_dword v39, v[24:25], off offset:256
	global_load_dword v40, v[24:25], off offset:512
	;; [unrolled: 1-line block ×3, first 2 shown]
	v_lshl_add_u64 v[24:25], s[22:23], 1, v[34:35]
	v_lshl_add_u64 v[36:37], s[24:25], 1, v[34:35]
	;; [unrolled: 1-line block ×3, first 2 shown]
	global_load_dword v42, v[24:25], off
	global_load_dword v43, v[36:37], off
	global_load_dword v44, v[34:35], off
	s_waitcnt vmcnt(7)
	;;#ASMSTART
	v_and_or_b32 v35, v38, v32, v33
	;;#ASMEND
	v_add_u32_e32 v30, 64, v30
	v_and_b32_e32 v46, 0xffff0000, v35
	v_lshlrev_b32_e32 v35, 16, v35
	v_add_f32_e32 v46, 0xc3080000, v46
	v_add_f32_e32 v35, 0xc3080000, v35
	v_cvt_pk_bf16_f32 v46, v46, s0
	v_cvt_pk_bf16_f32 v35, v35, s0
	v_lshlrev_b32_e32 v35, 16, v35
	v_lshlrev_b32_e32 v46, 16, v46
	v_add_u32_e32 v6, 0x400, v6
	v_lshrrev_b32_e32 v24, 4, v38
	v_lshrrev_b32_e32 v25, 8, v38
	;; [unrolled: 1-line block ×3, first 2 shown]
	;;#ASMSTART
	v_and_or_b32 v24, v24, v32, v33
	;;#ASMEND
	;;#ASMSTART
	v_and_or_b32 v25, v25, v32, v33
	;;#ASMEND
	;; [unrolled: 3-line block ×3, first 2 shown]
	s_waitcnt vmcnt(5)
	v_lshrrev_b32_e32 v37, 4, v39
	v_and_b32_e32 v47, 0xffff0000, v24
	v_lshlrev_b32_e32 v24, 16, v24
	v_and_b32_e32 v48, 0xffff0000, v25
	v_lshlrev_b32_e32 v25, 16, v25
	;; [unrolled: 2-line block ×3, first 2 shown]
	v_lshrrev_b32_e32 v38, 8, v39
	v_add_f32_e32 v47, 0xc3080000, v47
	v_add_f32_e32 v24, 0xc3080000, v24
	;; [unrolled: 1-line block ×6, first 2 shown]
	v_lshrrev_b32_e32 v45, 12, v39
	;;#ASMSTART
	v_and_or_b32 v39, v39, v32, v33
	;;#ASMEND
	;;#ASMSTART
	v_and_or_b32 v37, v37, v32, v33
	;;#ASMEND
	;;#ASMSTART
	v_and_or_b32 v38, v38, v32, v33
	;;#ASMEND
	v_cvt_pk_bf16_f32 v47, v47, s0
	v_cvt_pk_bf16_f32 v24, v24, s0
	;; [unrolled: 1-line block ×6, first 2 shown]
	v_and_b32_e32 v36, 0xffff0000, v7
	v_lshlrev_b32_e32 v7, 16, v7
	;;#ASMSTART
	v_and_or_b32 v45, v45, v32, v33
	;;#ASMEND
	v_and_b32_e32 v52, 0xffff0000, v38
	v_lshlrev_b32_e32 v38, 16, v38
	v_lshlrev_b32_e32 v24, 16, v24
	;; [unrolled: 1-line block ×7, first 2 shown]
	v_and_b32_e32 v50, 0xffff0000, v39
	v_lshlrev_b32_e32 v39, 16, v39
	v_and_b32_e32 v51, 0xffff0000, v37
	v_lshlrev_b32_e32 v37, 16, v37
	v_fma_f32 v35, v35, v7, v36
	v_fma_f32 v46, v46, v7, v36
	;; [unrolled: 1-line block ×7, first 2 shown]
	v_fmac_f32_e32 v36, v49, v7
	v_add_f32_e32 v7, 0xc3080000, v38
	v_and_b32_e32 v38, 0xffff0000, v45
	v_lshlrev_b32_e32 v45, 16, v45
	v_add_f32_e32 v50, 0xc3080000, v50
	v_add_f32_e32 v39, 0xc3080000, v39
	;; [unrolled: 1-line block ×7, first 2 shown]
	v_cvt_pk_bf16_f32 v50, v50, s0
	v_cvt_pk_bf16_f32 v39, v39, s0
	;; [unrolled: 1-line block ×8, first 2 shown]
	v_lshlrev_b32_e32 v39, 16, v39
	s_waitcnt vmcnt(2)
	v_and_b32_e32 v49, 0xffff0000, v42
	v_lshlrev_b32_e32 v42, 16, v42
	v_lshlrev_b32_e32 v50, 16, v50
	;; [unrolled: 1-line block ×8, first 2 shown]
	v_fma_f32 v39, v39, v42, v49
	v_fma_f32 v50, v50, v42, v49
	;; [unrolled: 1-line block ×7, first 2 shown]
	v_fmac_f32_e32 v49, v38, v42
	v_lshrrev_b32_e32 v38, 4, v40
	v_lshrrev_b32_e32 v42, 8, v40
	;; [unrolled: 1-line block ×3, first 2 shown]
	;;#ASMSTART
	v_and_or_b32 v40, v40, v32, v33
	;;#ASMEND
	;;#ASMSTART
	v_and_or_b32 v38, v38, v32, v33
	;;#ASMEND
	;; [unrolled: 3-line block ×4, first 2 shown]
	s_waitcnt vmcnt(1)
	v_and_b32_e32 v58, 0xffff0000, v43
	v_and_b32_e32 v54, 0xffff0000, v40
	v_lshlrev_b32_e32 v40, 16, v40
	v_and_b32_e32 v55, 0xffff0000, v38
	v_lshlrev_b32_e32 v38, 16, v38
	v_and_b32_e32 v56, 0xffff0000, v42
	v_lshlrev_b32_e32 v42, 16, v42
	v_and_b32_e32 v57, 0xffff0000, v53
	v_lshlrev_b32_e32 v53, 16, v53
	v_add_f32_e32 v54, 0xc3080000, v54
	v_add_f32_e32 v40, 0xc3080000, v40
	;; [unrolled: 1-line block ×8, first 2 shown]
	v_cvt_pk_bf16_f32 v54, v54, s0
	v_cvt_pk_bf16_f32 v40, v40, s0
	;; [unrolled: 1-line block ×8, first 2 shown]
	v_lshlrev_b32_e32 v40, 16, v40
	v_lshlrev_b32_e32 v43, 16, v43
	;; [unrolled: 1-line block ×9, first 2 shown]
	v_fma_f32 v40, v40, v43, v58
	v_fma_f32 v54, v54, v43, v58
	;; [unrolled: 1-line block ×7, first 2 shown]
	v_fmac_f32_e32 v58, v57, v43
	v_cvt_pk_bf16_f32 v35, v35, s0
	v_cvt_pk_bf16_f32 v43, v46, s0
	;; [unrolled: 1-line block ×5, first 2 shown]
	v_perm_b32 v24, v43, v35, s2
	v_lshrrev_b32_e32 v35, 4, v41
	v_cvt_pk_bf16_f32 v59, v39, s0
	v_cvt_pk_bf16_f32 v60, v40, s0
	;; [unrolled: 1-line block ×3, first 2 shown]
	v_lshrrev_b32_e32 v40, 8, v41
	v_perm_b32 v39, v36, v34, s2
	;;#ASMSTART
	v_and_or_b32 v36, v41, v32, v33
	;;#ASMEND
	;;#ASMSTART
	v_and_or_b32 v35, v35, v32, v33
	;;#ASMEND
	;; [unrolled: 3-line block ×3, first 2 shown]
	v_lshrrev_b32_e32 v34, 12, v41
	v_and_b32_e32 v43, 0xffff0000, v42
	v_lshlrev_b32_e32 v42, 16, v42
	v_cvt_pk_bf16_f32 v57, v25, s0
	v_cvt_pk_bf16_f32 v48, v48, s0
	;; [unrolled: 1-line block ×4, first 2 shown]
	;;#ASMSTART
	v_and_or_b32 v34, v34, v32, v33
	;;#ASMEND
	v_and_b32_e32 v40, 0xffff0000, v36
	v_lshlrev_b32_e32 v36, 16, v36
	v_add_f32_e32 v42, 0xc3080000, v42
	v_cvt_pk_bf16_f32 v61, v38, s0
	v_perm_b32 v38, v48, v57, s2
	v_add_f32_e32 v36, 0xc3080000, v36
	v_cvt_pk_bf16_f32 v48, v42, s0
	v_perm_b32 v42, v52, v7, s2
	v_and_b32_e32 v7, 0xffff0000, v34
	v_lshlrev_b32_e32 v34, 16, v34
	v_cvt_pk_bf16_f32 v47, v47, s0
	v_cvt_pk_bf16_f32 v50, v50, s0
	v_cvt_pk_bf16_f32 v37, v37, s0
	v_cvt_pk_bf16_f32 v51, v51, s0
	v_cvt_pk_bf16_f32 v45, v45, s0
	v_cvt_pk_bf16_f32 v49, v49, s0
	v_add_f32_e32 v40, 0xc3080000, v40
	v_cvt_pk_bf16_f32 v36, v36, s0
	v_add_f32_e32 v43, 0xc3080000, v43
	v_add_f32_e32 v34, 0xc3080000, v34
	v_perm_b32 v25, v47, v46, s2
	v_cvt_pk_bf16_f32 v46, v40, s0
	v_perm_b32 v40, v50, v59, s2
	v_perm_b32 v41, v51, v37, s2
	v_cvt_pk_bf16_f32 v47, v43, s0
	v_perm_b32 v43, v49, v45, s2
	v_cvt_pk_bf16_f32 v45, v34, s0
	v_lshlrev_b32_e32 v34, 16, v36
	s_waitcnt vmcnt(0)
	v_and_b32_e32 v50, 0xffff0000, v44
	v_lshlrev_b32_e32 v51, 16, v44
	v_and_b32_e32 v37, 0xffff0000, v35
	v_lshlrev_b32_e32 v35, 16, v35
	v_fma_f32 v34, v34, v51, v50
	v_add_f32_e32 v35, 0xc3080000, v35
	v_cvt_pk_bf16_f32 v52, v34, s0
	v_lshlrev_b32_e32 v34, 16, v46
	v_cvt_pk_bf16_f32 v35, v35, s0
	v_fma_f32 v34, v34, v51, v50
	v_add_f32_e32 v37, 0xc3080000, v37
	v_cvt_pk_bf16_f32 v57, v34, s0
	v_lshlrev_b32_e32 v34, 16, v35
	v_cvt_pk_bf16_f32 v37, v37, s0
	v_fma_f32 v34, v34, v51, v50
	v_cvt_pk_bf16_f32 v59, v34, s0
	v_lshlrev_b32_e32 v34, 16, v37
	v_fma_f32 v44, v34, v51, v50
	v_mfma_f32_16x16x16_bf16 v[34:37], v[12:13], v[24:25], 0
	v_lshlrev_b32_e32 v12, 16, v48
	v_fma_f32 v25, v12, v51, v50
	v_add_f32_e32 v7, 0xc3080000, v7
	v_mfma_f32_16x16x16_bf16 v[10:13], v[10:11], v[38:39], 0
	v_lshlrev_b32_e32 v38, 16, v47
	v_cvt_pk_bf16_f32 v24, v44, s0
	v_fma_f32 v44, v38, v51, v50
	v_mfma_f32_16x16x16_bf16 v[38:41], v[8:9], v[40:41], 0
	v_lshlrev_b32_e32 v8, 16, v45
	v_cvt_pk_bf16_f32 v54, v54, s0
	v_cvt_pk_bf16_f32 v55, v55, s0
	v_cvt_pk_bf16_f32 v7, v7, s0
	v_fma_f32 v8, v8, v51, v50
	v_cvt_pk_bf16_f32 v56, v56, s0
	v_cvt_pk_bf16_f32 v53, v53, s0
	;; [unrolled: 1-line block ×4, first 2 shown]
	v_mfma_f32_16x16x16_bf16 v[42:45], v[14:15], v[42:43], 0
	v_cvt_pk_bf16_f32 v64, v8, s0
	v_perm_b32 v8, v54, v60, s2
	v_perm_b32 v9, v55, v61, s2
	v_lshlrev_b32_e32 v7, 16, v7
	v_fmac_f32_e32 v50, v7, v51
	v_mfma_f32_16x16x16_bf16 v[46:49], v[20:21], v[8:9], 0
	v_perm_b32 v8, v56, v62, s2
	v_perm_b32 v9, v58, v53, s2
	v_pk_add_f32 v[2:3], v[2:3], v[36:37]
	v_pk_add_f32 v[0:1], v[0:1], v[34:35]
	v_cvt_pk_bf16_f32 v25, v25, s0
	v_mfma_f32_16x16x16_bf16 v[18:21], v[18:19], v[8:9], 0
	v_perm_b32 v8, v57, v52, s2
	v_perm_b32 v9, v24, v59, s2
	v_cvt_pk_bf16_f32 v7, v50, s0
	v_pk_add_f32 v[2:3], v[2:3], v[12:13]
	v_pk_add_f32 v[0:1], v[0:1], v[10:11]
	v_mfma_f32_16x16x16_bf16 v[14:17], v[16:17], v[8:9], 0
	v_perm_b32 v8, v63, v25, s2
	v_perm_b32 v9, v7, v64, s2
	v_pk_add_f32 v[2:3], v[2:3], v[40:41]
	v_pk_add_f32 v[0:1], v[0:1], v[38:39]
	v_mfma_f32_16x16x16_bf16 v[22:25], v[22:23], v[8:9], 0
	v_add_f32_e64 v2, v2, v44
	v_add_f32_e64 v3, v3, v45
	v_pk_add_f32 v[0:1], v[0:1], v[42:43]
	v_pk_add_f32 v[2:3], v[2:3], v[48:49]
	;; [unrolled: 1-line block ×7, first 2 shown]
	v_cmp_le_i32_e64 s[0:1], s5, v30
	v_pk_add_f32 v[2:3], v[2:3], v[24:25]
	v_pk_add_f32 v[0:1], v[0:1], v[22:23]
	s_or_b64 s[28:29], s[0:1], s[28:29]
	s_andn2_b64 exec, exec, s[28:29]
	s_cbranch_execz .LBB0_11
.LBB0_3:                                ; =>This Inner Loop Header: Depth=1
	v_ashrrev_i32_e32 v7, 31, v6
	v_lshl_add_u64 v[24:25], v[6:7], 1, v[4:5]
	v_mov_b32_e32 v8, 0
	v_mov_b32_e32 v12, 0
	;; [unrolled: 1-line block ×5, first 2 shown]
	s_and_saveexec_b64 s[0:1], vcc
	s_cbranch_execz .LBB0_5
; %bb.4:                                ;   in Loop: Header=BB0_3 Depth=1
	global_load_dwordx2 v[12:13], v[24:25], off
	global_load_dwordx2 v[10:11], v[24:25], off offset:32
.LBB0_5:                                ;   in Loop: Header=BB0_3 Depth=1
	s_or_b64 exec, exec, s[0:1]
	v_mov_b32_e32 v9, 0
	v_mov_b32_e32 v14, 0
	;; [unrolled: 1-line block ×3, first 2 shown]
	s_and_saveexec_b64 s[0:1], vcc
	s_cbranch_execz .LBB0_7
; %bb.6:                                ;   in Loop: Header=BB0_3 Depth=1
	global_load_dwordx2 v[8:9], v[24:25], off offset:64
	global_load_dwordx2 v[14:15], v[24:25], off offset:96
.LBB0_7:                                ;   in Loop: Header=BB0_3 Depth=1
	s_or_b64 exec, exec, s[0:1]
	v_mov_b32_e32 v16, 0
	v_mov_b32_e32 v20, 0
	v_mov_b32_e32 v21, 0
	v_mov_b32_e32 v18, 0
	v_mov_b32_e32 v19, 0
	s_and_saveexec_b64 s[0:1], vcc
	s_cbranch_execz .LBB0_9
; %bb.8:                                ;   in Loop: Header=BB0_3 Depth=1
	global_load_dwordx2 v[20:21], v[24:25], off offset:128
	global_load_dwordx2 v[18:19], v[24:25], off offset:160
.LBB0_9:                                ;   in Loop: Header=BB0_3 Depth=1
	s_or_b64 exec, exec, s[0:1]
	v_mov_b32_e32 v17, 0
	v_mov_b32_e32 v22, 0
	v_mov_b32_e32 v23, 0
	s_and_saveexec_b64 s[0:1], vcc
	s_cbranch_execz .LBB0_2
; %bb.10:                               ;   in Loop: Header=BB0_3 Depth=1
	global_load_dwordx2 v[16:17], v[24:25], off offset:192
	global_load_dwordx2 v[22:23], v[24:25], off offset:224
	s_branch .LBB0_2
.LBB0_11:
	s_or_b64 exec, exec, s[28:29]
.LBB0_12:
	s_or_b64 exec, exec, s[20:21]
	v_lshl_add_u32 v8, v28, 1, s5
	v_cmp_gt_u32_e32 vcc, s7, v8
	s_and_saveexec_b64 s[0:1], vcc
	s_cbranch_execz .LBB0_16
; %bb.13:
	v_lshl_or_b32 v9, s4, 4, v29
	v_cmp_gt_i32_e32 vcc, s12, v9
	v_mov_b32_e32 v6, 0
	v_mov_b32_e32 v7, 0
	;; [unrolled: 1-line block ×4, first 2 shown]
	s_and_saveexec_b64 s[20:21], vcc
	s_cbranch_execz .LBB0_15
; %bb.14:
	v_mul_lo_u32 v4, s14, v9
	v_and_b32_e32 v6, 0xfc, v27
	v_ashrrev_i32_e32 v5, 31, v4
	v_lshl_add_u32 v6, v8, 4, v6
	v_lshl_add_u64 v[4:5], v[4:5], 1, s[16:17]
	v_ashrrev_i32_e32 v7, 31, v6
	v_lshl_add_u64 v[10:11], v[6:7], 1, v[4:5]
	global_load_dwordx2 v[6:7], v[10:11], off
	global_load_dwordx2 v[4:5], v[10:11], off offset:32
.LBB0_15:
	s_or_b64 exec, exec, s[20:21]
	s_lshr_b32 s2, s7, 31
	s_add_i32 s2, s7, s2
	s_lshr_b32 s2, s2, 1
	s_mul_i32 s2, s2, s3
	v_ashrrev_i32_e32 v10, 1, v8
	v_add_u32_e32 v8, s2, v10
	v_lshl_add_u32 v8, v8, 6, v26
	v_ashrrev_i32_e32 v9, 31, v8
	v_lshl_add_u64 v[8:9], v[8:9], 2, s[18:19]
	v_mul_lo_u32 v10, s6, v10
	global_load_dword v8, v[8:9], off
	v_lshl_or_b32 v11, s3, 4, v29
	v_lshlrev_b32_e32 v10, 4, v10
	v_add_lshl_u32 v10, v11, v10, 1
	v_ashrrev_i32_e32 v11, 31, v10
	v_lshl_add_u64 v[10:11], v[10:11], 1, s[8:9]
	global_load_dword v10, v[10:11], off
	v_mov_b32_e32 v9, 0xf000f
	v_mov_b32_e32 v11, 0x43004300
	s_mov_b32 s2, 0x5040100
	s_waitcnt vmcnt(1)
	v_lshrrev_b32_e32 v13, 4, v8
	v_lshrrev_b32_e32 v14, 8, v8
	;; [unrolled: 1-line block ×3, first 2 shown]
	;;#ASMSTART
	v_and_or_b32 v8, v8, v9, v11
	;;#ASMEND
	;;#ASMSTART
	v_and_or_b32 v13, v13, v9, v11
	;;#ASMEND
	;; [unrolled: 3-line block ×4, first 2 shown]
	s_waitcnt vmcnt(0)
	v_and_b32_e32 v12, 0xffff0000, v10
	v_and_b32_e32 v11, 0xffff0000, v8
	v_lshlrev_b32_e32 v8, 16, v8
	v_and_b32_e32 v15, 0xffff0000, v13
	v_lshlrev_b32_e32 v13, 16, v13
	v_add_f32_e32 v11, 0xc3080000, v11
	v_add_f32_e32 v8, 0xc3080000, v8
	v_and_b32_e32 v16, 0xffff0000, v14
	v_lshlrev_b32_e32 v14, 16, v14
	v_and_b32_e32 v17, 0xffff0000, v9
	v_lshlrev_b32_e32 v9, 16, v9
	v_add_f32_e32 v15, 0xc3080000, v15
	v_add_f32_e32 v13, 0xc3080000, v13
	v_cvt_pk_bf16_f32 v11, v11, s0
	v_cvt_pk_bf16_f32 v8, v8, s0
	v_add_f32_e32 v16, 0xc3080000, v16
	v_add_f32_e32 v14, 0xc3080000, v14
	;; [unrolled: 1-line block ×4, first 2 shown]
	v_cvt_pk_bf16_f32 v15, v15, s0
	v_cvt_pk_bf16_f32 v13, v13, s0
	v_lshlrev_b32_e32 v10, 16, v10
	v_cvt_pk_bf16_f32 v16, v16, s0
	v_cvt_pk_bf16_f32 v14, v14, s0
	;; [unrolled: 1-line block ×4, first 2 shown]
	v_lshlrev_b32_e32 v8, 16, v8
	v_lshlrev_b32_e32 v11, 16, v11
	;; [unrolled: 1-line block ×4, first 2 shown]
	v_fma_f32 v8, v8, v10, v12
	v_fma_f32 v11, v11, v10, v12
	v_lshlrev_b32_e32 v14, 16, v14
	v_lshlrev_b32_e32 v16, 16, v16
	;; [unrolled: 1-line block ×4, first 2 shown]
	v_fma_f32 v13, v13, v10, v12
	v_fma_f32 v15, v15, v10, v12
	v_cvt_pk_bf16_f32 v8, v8, s0
	v_cvt_pk_bf16_f32 v11, v11, s0
	v_fma_f32 v14, v14, v10, v12
	v_fma_f32 v16, v16, v10, v12
	;; [unrolled: 1-line block ×3, first 2 shown]
	v_fmac_f32_e32 v12, v17, v10
	v_cvt_pk_bf16_f32 v10, v13, s0
	v_cvt_pk_bf16_f32 v13, v15, s0
	;; [unrolled: 1-line block ×5, first 2 shown]
	v_perm_b32 v8, v11, v8, s2
	v_perm_b32 v9, v13, v10, s2
	v_cvt_pk_bf16_f32 v11, v12, s0
	v_perm_b32 v10, v15, v14, s2
	v_mfma_f32_16x16x16_bf16 v[6:9], v[6:7], v[8:9], 0
	v_perm_b32 v11, v11, v16, s2
	s_nop 1
	v_mfma_f32_16x16x16_bf16 v[10:13], v[4:5], v[10:11], 0
	s_nop 3
	v_add_f32_e64 v2, v2, v8
	v_add_f32_e64 v3, v3, v9
	v_pk_add_f32 v[0:1], v[0:1], v[6:7]
	s_nop 0
	v_pk_add_f32 v[2:3], v[2:3], v[12:13]
	v_pk_add_f32 v[0:1], v[0:1], v[10:11]
.LBB0_16:
	s_or_b64 exec, exec, s[0:1]
	v_lshlrev_b32_e32 v29, 4, v26
	v_lshl_add_u32 v4, v28, 10, v29
	v_cmp_eq_u32_e32 vcc, 0, v28
	ds_write_b128 v4, v[0:3]
	s_waitcnt lgkmcnt(0)
	s_barrier
	s_and_saveexec_b64 s[0:1], vcc
	s_cbranch_execz .LBB0_25
; %bb.17:
	v_add_u32_e32 v6, 12, v29
	v_add_u32_e32 v4, 0x404, v29
	;; [unrolled: 1-line block ×7, first 2 shown]
	ds_read2st64_b32 v[0:1], v6 offset1:4
	ds_read2st64_b32 v[2:3], v6 offset0:8 offset1:12
	ds_read2_b32 v[10:11], v29 offset0:1 offset1:2
	ds_read2_b32 v[12:13], v4 offset1:1
	ds_read2_b32 v[14:15], v5 offset1:1
	;; [unrolled: 1-line block ×3, first 2 shown]
	ds_read2st64_b32 v[4:5], v6 offset0:16 offset1:20
	v_add_u32_e32 v9, 0x1404, v29
	ds_read2st64_b32 v[6:7], v6 offset0:24 offset1:28
	ds_read2_b32 v[18:19], v8 offset1:1
	ds_read2_b32 v[20:21], v9 offset1:1
	;; [unrolled: 1-line block ×4, first 2 shown]
	v_and_b32_e32 v8, 0xfc, v27
	v_lshl_add_u32 v27, s4, 4, v8
	s_lshl_b32 s0, s3, 4
	v_mul_lo_u32 v30, s13, v27
	v_and_or_b32 v8, v26, 15, s0
	v_ashrrev_i32_e32 v31, 31, v30
	v_lshl_add_u64 v[30:31], v[30:31], 1, s[10:11]
	v_ashrrev_i32_e32 v9, 31, v8
	v_lshl_add_u64 v[8:9], v[8:9], 1, v[30:31]
	v_cmp_gt_i32_e32 vcc, s12, v27
	s_and_saveexec_b64 s[0:1], vcc
	s_cbranch_execz .LBB0_19
; %bb.18:
	ds_read2st64_b32 v[30:31], v29 offset1:4
	ds_read2st64_b32 v[32:33], v29 offset0:8 offset1:12
	ds_read2st64_b32 v[34:35], v29 offset0:16 offset1:20
	;; [unrolled: 1-line block ×3, first 2 shown]
	s_waitcnt lgkmcnt(3)
	v_add_f32_e32 v26, 0, v30
	v_add_f32_e32 v26, v26, v31
	s_waitcnt lgkmcnt(2)
	v_add_f32_e32 v26, v26, v32
	v_add_f32_e32 v26, v26, v33
	;; [unrolled: 3-line block ×4, first 2 shown]
	v_cvt_pk_bf16_f32 v26, v26, s0
	global_store_short v[8:9], v26, off
.LBB0_19:
	s_or_b64 exec, exec, s[0:1]
	v_or_b32_e32 v26, 1, v27
	v_cmp_gt_i32_e32 vcc, s12, v26
	s_and_saveexec_b64 s[0:1], vcc
	s_cbranch_execz .LBB0_21
; %bb.20:
	s_waitcnt lgkmcnt(9)
	v_add_f32_e32 v10, 0, v10
	s_waitcnt lgkmcnt(8)
	v_add_f32_e32 v10, v10, v12
	;; [unrolled: 2-line block ×8, first 2 shown]
	s_ashr_i32 s3, s13, 31
	s_mov_b32 s2, s13
	v_cvt_pk_bf16_f32 v10, v10, s0
	v_lshl_add_u64 v[28:29], s[2:3], 1, v[8:9]
	global_store_short v[28:29], v10, off
.LBB0_21:
	s_or_b64 exec, exec, s[0:1]
	s_waitcnt lgkmcnt(9)
	v_or_b32_e32 v10, 2, v27
	v_cmp_gt_i32_e32 vcc, s12, v10
	s_and_saveexec_b64 s[0:1], vcc
	s_cbranch_execz .LBB0_23
; %bb.22:
	v_add_f32_e32 v10, 0, v11
	s_waitcnt lgkmcnt(8)
	v_add_f32_e32 v10, v10, v13
	s_waitcnt lgkmcnt(7)
	;; [unrolled: 2-line block ×6, first 2 shown]
	v_add_f32_e32 v10, v10, v23
	s_lshl_b32 s2, s13, 1
	s_waitcnt lgkmcnt(0)
	v_add_f32_e32 v10, v10, v25
	s_ashr_i32 s3, s2, 31
	v_cvt_pk_bf16_f32 v12, v10, s0
	v_lshl_add_u64 v[10:11], s[2:3], 1, v[8:9]
	global_store_short v[10:11], v12, off
.LBB0_23:
	s_or_b64 exec, exec, s[0:1]
	v_or_b32_e32 v10, 3, v27
	v_cmp_gt_i32_e32 vcc, s12, v10
	s_and_b64 exec, exec, vcc
	s_cbranch_execz .LBB0_25
; %bb.24:
	v_add_f32_e32 v0, 0, v0
	v_add_f32_e32 v0, v0, v1
	;; [unrolled: 1-line block ×4, first 2 shown]
	s_waitcnt lgkmcnt(5)
	v_add_f32_e32 v0, v0, v4
	v_add_f32_e32 v0, v0, v5
	s_waitcnt lgkmcnt(4)
	v_add_f32_e32 v0, v0, v6
	v_add_f32_e32 v0, v0, v7
	v_cvt_pk_bf16_f32 v2, v0, s0
	s_mul_i32 s0, s13, 3
	s_ashr_i32 s1, s0, 31
	v_lshl_add_u64 v[0:1], s[0:1], 1, v[8:9]
	global_store_short v[0:1], v2, off
.LBB0_25:
	s_endpgm
	.section	.rodata,"a",@progbits
	.p2align	6, 0x0
	.amdhsa_kernel _ZN2at6native30tinygemm_m16n8k16_chunk_kernelINS0_10ALayout_RMILNS0_14KReductionTypeE0EEENS0_15BLayout_TC_int4ILi2ELi32EEES4_Li8ELi8EEEvPKvS8_S8_Pviiiiii
		.amdhsa_group_segment_fixed_size 8192
		.amdhsa_private_segment_fixed_size 0
		.amdhsa_kernarg_size 56
		.amdhsa_user_sgpr_count 2
		.amdhsa_user_sgpr_dispatch_ptr 0
		.amdhsa_user_sgpr_queue_ptr 0
		.amdhsa_user_sgpr_kernarg_segment_ptr 1
		.amdhsa_user_sgpr_dispatch_id 0
		.amdhsa_user_sgpr_kernarg_preload_length 0
		.amdhsa_user_sgpr_kernarg_preload_offset 0
		.amdhsa_user_sgpr_private_segment_size 0
		.amdhsa_uses_dynamic_stack 0
		.amdhsa_enable_private_segment 0
		.amdhsa_system_sgpr_workgroup_id_x 1
		.amdhsa_system_sgpr_workgroup_id_y 1
		.amdhsa_system_sgpr_workgroup_id_z 1
		.amdhsa_system_sgpr_workgroup_info 0
		.amdhsa_system_vgpr_workitem_id 1
		.amdhsa_next_free_vgpr 65
		.amdhsa_next_free_sgpr 31
		.amdhsa_accum_offset 68
		.amdhsa_reserve_vcc 1
		.amdhsa_float_round_mode_32 0
		.amdhsa_float_round_mode_16_64 0
		.amdhsa_float_denorm_mode_32 3
		.amdhsa_float_denorm_mode_16_64 3
		.amdhsa_dx10_clamp 1
		.amdhsa_ieee_mode 1
		.amdhsa_fp16_overflow 0
		.amdhsa_tg_split 0
		.amdhsa_exception_fp_ieee_invalid_op 0
		.amdhsa_exception_fp_denorm_src 0
		.amdhsa_exception_fp_ieee_div_zero 0
		.amdhsa_exception_fp_ieee_overflow 0
		.amdhsa_exception_fp_ieee_underflow 0
		.amdhsa_exception_fp_ieee_inexact 0
		.amdhsa_exception_int_div_zero 0
	.end_amdhsa_kernel
	.section	.text._ZN2at6native30tinygemm_m16n8k16_chunk_kernelINS0_10ALayout_RMILNS0_14KReductionTypeE0EEENS0_15BLayout_TC_int4ILi2ELi32EEES4_Li8ELi8EEEvPKvS8_S8_Pviiiiii,"axG",@progbits,_ZN2at6native30tinygemm_m16n8k16_chunk_kernelINS0_10ALayout_RMILNS0_14KReductionTypeE0EEENS0_15BLayout_TC_int4ILi2ELi32EEES4_Li8ELi8EEEvPKvS8_S8_Pviiiiii,comdat
.Lfunc_end0:
	.size	_ZN2at6native30tinygemm_m16n8k16_chunk_kernelINS0_10ALayout_RMILNS0_14KReductionTypeE0EEENS0_15BLayout_TC_int4ILi2ELi32EEES4_Li8ELi8EEEvPKvS8_S8_Pviiiiii, .Lfunc_end0-_ZN2at6native30tinygemm_m16n8k16_chunk_kernelINS0_10ALayout_RMILNS0_14KReductionTypeE0EEENS0_15BLayout_TC_int4ILi2ELi32EEES4_Li8ELi8EEEvPKvS8_S8_Pviiiiii
                                        ; -- End function
	.set _ZN2at6native30tinygemm_m16n8k16_chunk_kernelINS0_10ALayout_RMILNS0_14KReductionTypeE0EEENS0_15BLayout_TC_int4ILi2ELi32EEES4_Li8ELi8EEEvPKvS8_S8_Pviiiiii.num_vgpr, 65
	.set _ZN2at6native30tinygemm_m16n8k16_chunk_kernelINS0_10ALayout_RMILNS0_14KReductionTypeE0EEENS0_15BLayout_TC_int4ILi2ELi32EEES4_Li8ELi8EEEvPKvS8_S8_Pviiiiii.num_agpr, 0
	.set _ZN2at6native30tinygemm_m16n8k16_chunk_kernelINS0_10ALayout_RMILNS0_14KReductionTypeE0EEENS0_15BLayout_TC_int4ILi2ELi32EEES4_Li8ELi8EEEvPKvS8_S8_Pviiiiii.numbered_sgpr, 31
	.set _ZN2at6native30tinygemm_m16n8k16_chunk_kernelINS0_10ALayout_RMILNS0_14KReductionTypeE0EEENS0_15BLayout_TC_int4ILi2ELi32EEES4_Li8ELi8EEEvPKvS8_S8_Pviiiiii.num_named_barrier, 0
	.set _ZN2at6native30tinygemm_m16n8k16_chunk_kernelINS0_10ALayout_RMILNS0_14KReductionTypeE0EEENS0_15BLayout_TC_int4ILi2ELi32EEES4_Li8ELi8EEEvPKvS8_S8_Pviiiiii.private_seg_size, 0
	.set _ZN2at6native30tinygemm_m16n8k16_chunk_kernelINS0_10ALayout_RMILNS0_14KReductionTypeE0EEENS0_15BLayout_TC_int4ILi2ELi32EEES4_Li8ELi8EEEvPKvS8_S8_Pviiiiii.uses_vcc, 1
	.set _ZN2at6native30tinygemm_m16n8k16_chunk_kernelINS0_10ALayout_RMILNS0_14KReductionTypeE0EEENS0_15BLayout_TC_int4ILi2ELi32EEES4_Li8ELi8EEEvPKvS8_S8_Pviiiiii.uses_flat_scratch, 0
	.set _ZN2at6native30tinygemm_m16n8k16_chunk_kernelINS0_10ALayout_RMILNS0_14KReductionTypeE0EEENS0_15BLayout_TC_int4ILi2ELi32EEES4_Li8ELi8EEEvPKvS8_S8_Pviiiiii.has_dyn_sized_stack, 0
	.set _ZN2at6native30tinygemm_m16n8k16_chunk_kernelINS0_10ALayout_RMILNS0_14KReductionTypeE0EEENS0_15BLayout_TC_int4ILi2ELi32EEES4_Li8ELi8EEEvPKvS8_S8_Pviiiiii.has_recursion, 0
	.set _ZN2at6native30tinygemm_m16n8k16_chunk_kernelINS0_10ALayout_RMILNS0_14KReductionTypeE0EEENS0_15BLayout_TC_int4ILi2ELi32EEES4_Li8ELi8EEEvPKvS8_S8_Pviiiiii.has_indirect_call, 0
	.section	.AMDGPU.csdata,"",@progbits
; Kernel info:
; codeLenInByte = 4140
; TotalNumSgprs: 37
; NumVgprs: 65
; NumAgprs: 0
; TotalNumVgprs: 65
; ScratchSize: 0
; MemoryBound: 0
; FloatMode: 240
; IeeeMode: 1
; LDSByteSize: 8192 bytes/workgroup (compile time only)
; SGPRBlocks: 4
; VGPRBlocks: 8
; NumSGPRsForWavesPerEU: 37
; NumVGPRsForWavesPerEU: 65
; AccumOffset: 68
; Occupancy: 7
; WaveLimiterHint : 1
; COMPUTE_PGM_RSRC2:SCRATCH_EN: 0
; COMPUTE_PGM_RSRC2:USER_SGPR: 2
; COMPUTE_PGM_RSRC2:TRAP_HANDLER: 0
; COMPUTE_PGM_RSRC2:TGID_X_EN: 1
; COMPUTE_PGM_RSRC2:TGID_Y_EN: 1
; COMPUTE_PGM_RSRC2:TGID_Z_EN: 1
; COMPUTE_PGM_RSRC2:TIDIG_COMP_CNT: 1
; COMPUTE_PGM_RSRC3_GFX90A:ACCUM_OFFSET: 16
; COMPUTE_PGM_RSRC3_GFX90A:TG_SPLIT: 0
	.section	.text._ZN2at6native30tinygemm_m16n8k16_chunk_kernelINS0_10ALayout_RMILNS0_14KReductionTypeE0EEENS0_15BLayout_TC_int4ILi4ELi32EEES4_Li8ELi8EEEvPKvS8_S8_Pviiiiii,"axG",@progbits,_ZN2at6native30tinygemm_m16n8k16_chunk_kernelINS0_10ALayout_RMILNS0_14KReductionTypeE0EEENS0_15BLayout_TC_int4ILi4ELi32EEES4_Li8ELi8EEEvPKvS8_S8_Pviiiiii,comdat
	.protected	_ZN2at6native30tinygemm_m16n8k16_chunk_kernelINS0_10ALayout_RMILNS0_14KReductionTypeE0EEENS0_15BLayout_TC_int4ILi4ELi32EEES4_Li8ELi8EEEvPKvS8_S8_Pviiiiii ; -- Begin function _ZN2at6native30tinygemm_m16n8k16_chunk_kernelINS0_10ALayout_RMILNS0_14KReductionTypeE0EEENS0_15BLayout_TC_int4ILi4ELi32EEES4_Li8ELi8EEEvPKvS8_S8_Pviiiiii
	.globl	_ZN2at6native30tinygemm_m16n8k16_chunk_kernelINS0_10ALayout_RMILNS0_14KReductionTypeE0EEENS0_15BLayout_TC_int4ILi4ELi32EEES4_Li8ELi8EEEvPKvS8_S8_Pviiiiii
	.p2align	8
	.type	_ZN2at6native30tinygemm_m16n8k16_chunk_kernelINS0_10ALayout_RMILNS0_14KReductionTypeE0EEENS0_15BLayout_TC_int4ILi4ELi32EEES4_Li8ELi8EEEvPKvS8_S8_Pviiiiii,@function
_ZN2at6native30tinygemm_m16n8k16_chunk_kernelINS0_10ALayout_RMILNS0_14KReductionTypeE0EEENS0_15BLayout_TC_int4ILi4ELi32EEES4_Li8ELi8EEEvPKvS8_S8_Pviiiiii: ; @_ZN2at6native30tinygemm_m16n8k16_chunk_kernelINS0_10ALayout_RMILNS0_14KReductionTypeE0EEENS0_15BLayout_TC_int4ILi4ELi32EEES4_Li8ELi8EEEvPKvS8_S8_Pviiiiii
; %bb.0:
	s_load_dwordx2 s[6:7], s[0:1], 0x30
	s_load_dwordx4 s[16:19], s[0:1], 0x0
	s_load_dwordx8 s[8:15], s[0:1], 0x10
	v_bfe_u32 v28, v0, 10, 10
	v_and_b32_e32 v26, 0x3ff, v0
	s_waitcnt lgkmcnt(0)
	s_ashr_i32 s5, s7, 31
	s_lshr_b32 s0, s5, 29
	s_add_i32 s0, s7, s0
	v_lshlrev_b32_e32 v0, 3, v28
	s_and_b32 s15, s0, -8
	v_lshl_add_u32 v31, s2, 6, v0
	v_mov_b32_e32 v0, 0
	v_cmp_gt_i32_e32 vcc, s15, v31
	v_mov_b32_e32 v1, v0
	v_mov_b32_e32 v2, v0
	;; [unrolled: 1-line block ×3, first 2 shown]
	v_and_b32_e32 v29, 15, v26
	v_lshrrev_b32_e32 v27, 2, v26
	v_lshlrev_b32_e32 v30, 1, v26
	s_and_saveexec_b64 s[20:21], vcc
	s_cbranch_execz .LBB1_12
; %bb.1:
	v_lshl_or_b32 v1, s4, 4, v29
	s_lshr_b32 s0, s5, 30
	v_mul_lo_u32 v2, s14, v1
	s_add_i32 s0, s7, s0
	v_and_b32_e32 v6, 0xfc, v27
	v_ashrrev_i32_e32 v3, 31, v2
	v_cmp_gt_i32_e32 vcc, s12, v1
	s_ashr_i32 s30, s0, 2
	s_lshl_b32 s22, s6, 5
	s_lshl_b32 s24, s6, 6
	s_mul_i32 s26, s6, 0x60
	s_lshl_b32 s0, s2, 10
	v_lshlrev_b32_e32 v1, 7, v28
	v_lshl_add_u64 v[4:5], v[2:3], 1, s[16:17]
	s_mul_i32 s30, s30, s3
	v_lshl_or_b32 v32, s3, 4, v29
	s_lshl_b32 s31, s6, 4
	s_ashr_i32 s23, s22, 31
	s_ashr_i32 s25, s24, 31
	;; [unrolled: 1-line block ×3, first 2 shown]
	v_add3_u32 v6, s0, v1, v6
	s_mov_b64 s[28:29], 0
	v_mov_b32_e32 v33, 0xf000f
	v_mov_b32_e32 v34, 0x43004300
	s_mov_b32 s2, 0x5040100
	v_mov_b32_e32 v1, v0
	v_mov_b32_e32 v2, v0
	;; [unrolled: 1-line block ×3, first 2 shown]
	s_branch .LBB1_3
.LBB1_2:                                ;   in Loop: Header=BB1_3 Depth=1
	s_or_b64 exec, exec, s[0:1]
	v_lshrrev_b32_e32 v7, 2, v31
	v_add_u32_e32 v7, s30, v7
	v_lshl_add_u32 v24, v7, 7, v30
	v_ashrrev_i32_e32 v25, 31, v24
	v_lshl_add_u64 v[36:37], v[24:25], 2, s[18:19]
	global_load_dwordx2 v[38:39], v[36:37], off
	v_lshrrev_b32_e32 v7, 1, v31
	v_mul_lo_u32 v7, s31, v7
	v_add_lshl_u32 v24, v32, v7, 1
	v_ashrrev_i32_e32 v25, 31, v24
	v_lshl_add_u64 v[40:41], v[24:25], 1, s[8:9]
	global_load_dword v7, v[40:41], off
	global_load_dwordx2 v[24:25], v[36:37], off offset:512
	v_lshl_add_u64 v[36:37], s[22:23], 1, v[40:41]
	v_lshl_add_u64 v[42:43], s[24:25], 1, v[40:41]
	;; [unrolled: 1-line block ×3, first 2 shown]
	global_load_dword v35, v[36:37], off
	global_load_dword v44, v[42:43], off
	;; [unrolled: 1-line block ×3, first 2 shown]
	s_waitcnt vmcnt(5)
	;;#ASMSTART
	v_and_or_b32 v36, v38, v33, v34
	;;#ASMEND
	v_add_u32_e32 v31, 64, v31
	v_and_b32_e32 v47, 0xffff0000, v36
	v_lshlrev_b32_e32 v36, 16, v36
	v_add_f32_e32 v47, 0xc3080000, v47
	v_add_f32_e32 v36, 0xc3080000, v36
	v_cvt_pk_bf16_f32 v47, v47, s0
	v_cvt_pk_bf16_f32 v36, v36, s0
	v_lshlrev_b32_e32 v36, 16, v36
	v_lshlrev_b32_e32 v47, 16, v47
	v_add_u32_e32 v6, 0x400, v6
	v_lshrrev_b32_e32 v37, 4, v38
	v_lshrrev_b32_e32 v40, 8, v38
	;; [unrolled: 1-line block ×3, first 2 shown]
	;;#ASMSTART
	v_and_or_b32 v37, v37, v33, v34
	;;#ASMEND
	;;#ASMSTART
	v_and_or_b32 v40, v40, v33, v34
	;;#ASMEND
	;; [unrolled: 3-line block ×3, first 2 shown]
	v_lshrrev_b32_e32 v42, 4, v39
	v_lshrrev_b32_e32 v43, 8, v39
	v_and_b32_e32 v48, 0xffff0000, v37
	v_lshlrev_b32_e32 v37, 16, v37
	v_and_b32_e32 v49, 0xffff0000, v40
	v_lshlrev_b32_e32 v40, 16, v40
	;; [unrolled: 2-line block ×3, first 2 shown]
	v_lshrrev_b32_e32 v45, 12, v39
	;;#ASMSTART
	v_and_or_b32 v39, v39, v33, v34
	;;#ASMEND
	;;#ASMSTART
	v_and_or_b32 v42, v42, v33, v34
	;;#ASMEND
	;; [unrolled: 3-line block ×3, first 2 shown]
	v_add_f32_e32 v48, 0xc3080000, v48
	v_add_f32_e32 v37, 0xc3080000, v37
	;; [unrolled: 1-line block ×6, first 2 shown]
	v_and_b32_e32 v53, 0xffff0000, v43
	v_lshlrev_b32_e32 v43, 16, v43
	v_cvt_pk_bf16_f32 v48, v48, s0
	v_cvt_pk_bf16_f32 v37, v37, s0
	;; [unrolled: 1-line block ×6, first 2 shown]
	s_waitcnt vmcnt(4)
	v_and_b32_e32 v41, 0xffff0000, v7
	v_lshlrev_b32_e32 v7, 16, v7
	;;#ASMSTART
	v_and_or_b32 v45, v45, v33, v34
	;;#ASMEND
	v_add_f32_e32 v43, 0xc3080000, v43
	v_lshlrev_b32_e32 v37, 16, v37
	v_lshlrev_b32_e32 v48, 16, v48
	v_lshlrev_b32_e32 v40, 16, v40
	v_lshlrev_b32_e32 v49, 16, v49
	v_lshlrev_b32_e32 v38, 16, v38
	v_lshlrev_b32_e32 v50, 16, v50
	v_and_b32_e32 v51, 0xffff0000, v39
	v_lshlrev_b32_e32 v39, 16, v39
	v_and_b32_e32 v52, 0xffff0000, v42
	v_lshlrev_b32_e32 v42, 16, v42
	v_fma_f32 v36, v36, v7, v41
	v_fma_f32 v47, v47, v7, v41
	;; [unrolled: 1-line block ×7, first 2 shown]
	v_fmac_f32_e32 v41, v50, v7
	v_cvt_pk_bf16_f32 v7, v43, s0
	v_and_b32_e32 v43, 0xffff0000, v45
	v_lshlrev_b32_e32 v45, 16, v45
	v_add_f32_e32 v51, 0xc3080000, v51
	v_add_f32_e32 v39, 0xc3080000, v39
	v_add_f32_e32 v52, 0xc3080000, v52
	v_add_f32_e32 v42, 0xc3080000, v42
	v_add_f32_e32 v53, 0xc3080000, v53
	v_add_f32_e32 v43, 0xc3080000, v43
	v_add_f32_e32 v45, 0xc3080000, v45
	v_cvt_pk_bf16_f32 v51, v51, s0
	v_cvt_pk_bf16_f32 v39, v39, s0
	;; [unrolled: 1-line block ×7, first 2 shown]
	v_lshlrev_b32_e32 v39, 16, v39
	s_waitcnt vmcnt(2)
	v_and_b32_e32 v50, 0xffff0000, v35
	v_lshlrev_b32_e32 v35, 16, v35
	v_lshlrev_b32_e32 v51, 16, v51
	;; [unrolled: 1-line block ×8, first 2 shown]
	v_fma_f32 v39, v39, v35, v50
	v_fma_f32 v51, v51, v35, v50
	;; [unrolled: 1-line block ×7, first 2 shown]
	v_fmac_f32_e32 v50, v43, v35
	;;#ASMSTART
	v_and_or_b32 v35, v24, v33, v34
	;;#ASMEND
	v_lshrrev_b32_e32 v43, 4, v24
	v_lshrrev_b32_e32 v54, 8, v24
	;; [unrolled: 1-line block ×3, first 2 shown]
	;;#ASMSTART
	v_and_or_b32 v43, v43, v33, v34
	;;#ASMEND
	;;#ASMSTART
	v_and_or_b32 v54, v54, v33, v34
	;;#ASMEND
	;; [unrolled: 3-line block ×3, first 2 shown]
	v_and_b32_e32 v55, 0xffff0000, v35
	v_lshlrev_b32_e32 v35, 16, v35
	v_and_b32_e32 v56, 0xffff0000, v43
	v_lshlrev_b32_e32 v43, 16, v43
	;; [unrolled: 2-line block ×4, first 2 shown]
	v_add_f32_e32 v55, 0xc3080000, v55
	v_add_f32_e32 v35, 0xc3080000, v35
	;; [unrolled: 1-line block ×8, first 2 shown]
	v_cvt_pk_bf16_f32 v55, v55, s0
	v_cvt_pk_bf16_f32 v35, v35, s0
	;; [unrolled: 1-line block ×8, first 2 shown]
	v_lshlrev_b32_e32 v35, 16, v35
	s_waitcnt vmcnt(1)
	v_and_b32_e32 v59, 0xffff0000, v44
	v_lshlrev_b32_e32 v44, 16, v44
	v_lshlrev_b32_e32 v55, 16, v55
	;; [unrolled: 1-line block ×8, first 2 shown]
	v_fma_f32 v35, v35, v44, v59
	v_fma_f32 v55, v55, v44, v59
	;; [unrolled: 1-line block ×7, first 2 shown]
	v_fmac_f32_e32 v59, v58, v44
	v_cvt_pk_bf16_f32 v36, v36, s0
	v_cvt_pk_bf16_f32 v44, v47, s0
	;; [unrolled: 1-line block ×5, first 2 shown]
	v_perm_b32 v36, v44, v36, s2
	v_cvt_pk_bf16_f32 v44, v49, s0
	v_cvt_pk_bf16_f32 v48, v52, s0
	;; [unrolled: 1-line block ×6, first 2 shown]
	;;#ASMSTART
	v_and_or_b32 v24, v25, v33, v34
	;;#ASMEND
	v_perm_b32 v41, v41, v38, s2
	v_lshrrev_b32_e32 v38, 4, v25
	v_lshrrev_b32_e32 v43, 8, v25
	;; [unrolled: 1-line block ×3, first 2 shown]
	v_cvt_pk_bf16_f32 v37, v37, s0
	;;#ASMSTART
	v_and_or_b32 v38, v38, v33, v34
	;;#ASMEND
	;;#ASMSTART
	v_and_or_b32 v43, v43, v33, v34
	;;#ASMEND
	;; [unrolled: 3-line block ×3, first 2 shown]
	v_and_b32_e32 v25, 0xffff0000, v24
	v_lshlrev_b32_e32 v24, 16, v24
	v_perm_b32 v37, v47, v37, s2
	v_cvt_pk_bf16_f32 v39, v39, s0
	v_cvt_pk_bf16_f32 v47, v51, s0
	v_add_f32_e32 v24, 0xc3080000, v24
	v_cvt_pk_bf16_f32 v60, v24, s0
	v_perm_b32 v24, v47, v39, s2
	v_and_b32_e32 v39, 0xffff0000, v38
	v_lshlrev_b32_e32 v38, 16, v38
	v_cvt_pk_bf16_f32 v40, v40, s0
	v_cvt_pk_bf16_f32 v42, v42, s0
	;; [unrolled: 1-line block ×3, first 2 shown]
	v_add_f32_e32 v25, 0xc3080000, v25
	v_add_f32_e32 v38, 0xc3080000, v38
	v_cvt_pk_bf16_f32 v51, v55, s0
	v_cvt_pk_bf16_f32 v55, v57, s0
	v_cvt_pk_bf16_f32 v57, v59, s0
	v_perm_b32 v40, v44, v40, s2
	v_cvt_pk_bf16_f32 v59, v25, s0
	v_perm_b32 v25, v48, v42, s2
	v_cvt_pk_bf16_f32 v38, v38, s0
	v_perm_b32 v44, v49, v7, s2
	v_and_b32_e32 v7, 0xffff0000, v58
	v_lshlrev_b32_e32 v47, 16, v58
	v_lshlrev_b32_e32 v48, 16, v60
	s_waitcnt vmcnt(0)
	v_and_b32_e32 v58, 0xffff0000, v46
	v_lshlrev_b32_e32 v60, 16, v46
	v_add_f32_e32 v39, 0xc3080000, v39
	v_and_b32_e32 v42, 0xffff0000, v43
	v_lshlrev_b32_e32 v43, 16, v43
	v_fma_f32 v46, v48, v60, v58
	v_lshlrev_b32_e32 v38, 16, v38
	v_cvt_pk_bf16_f32 v39, v39, s0
	v_add_f32_e32 v43, 0xc3080000, v43
	v_cvt_pk_bf16_f32 v61, v46, s0
	v_lshlrev_b32_e32 v46, 16, v59
	v_fma_f32 v38, v38, v60, v58
	v_add_f32_e32 v42, 0xc3080000, v42
	v_cvt_pk_bf16_f32 v43, v43, s0
	v_fma_f32 v46, v46, v60, v58
	v_cvt_pk_bf16_f32 v62, v38, s0
	v_lshlrev_b32_e32 v38, 16, v39
	v_cvt_pk_bf16_f32 v42, v42, s0
	v_add_f32_e32 v47, 0xc3080000, v47
	v_cvt_pk_bf16_f32 v59, v46, s0
	v_fma_f32 v46, v38, v60, v58
	v_mfma_f32_16x16x16_bf16 v[36:39], v[12:13], v[36:37], 0
	v_lshlrev_b32_e32 v12, 16, v43
	v_cvt_pk_bf16_f32 v47, v47, s0
	v_fma_f32 v43, v12, v60, v58
	v_mfma_f32_16x16x16_bf16 v[10:13], v[10:11], v[40:41], 0
	v_lshlrev_b32_e32 v40, 16, v42
	v_cvt_pk_bf16_f32 v45, v45, s0
	v_cvt_pk_bf16_f32 v50, v50, s0
	v_add_f32_e32 v7, 0xc3080000, v7
	v_cvt_pk_bf16_f32 v63, v46, s0
	v_cvt_pk_bf16_f32 v64, v43, s0
	v_fma_f32 v46, v40, v60, v58
	v_mfma_f32_16x16x16_bf16 v[40:43], v[8:9], v[24:25], 0
	v_lshlrev_b32_e32 v8, 16, v47
	v_cvt_pk_bf16_f32 v35, v35, s0
	v_perm_b32 v45, v50, v45, s2
	v_cvt_pk_bf16_f32 v7, v7, s0
	v_fma_f32 v8, v8, v60, v58
	v_cvt_pk_bf16_f32 v54, v54, s0
	v_cvt_pk_bf16_f32 v24, v46, s0
	v_mfma_f32_16x16x16_bf16 v[44:47], v[14:15], v[44:45], 0
	v_cvt_pk_bf16_f32 v25, v8, s0
	v_perm_b32 v8, v51, v35, s2
	v_perm_b32 v9, v53, v52, s2
	v_lshlrev_b32_e32 v7, 16, v7
	v_fmac_f32_e32 v58, v7, v60
	v_mfma_f32_16x16x16_bf16 v[48:51], v[20:21], v[8:9], 0
	v_perm_b32 v8, v55, v54, s2
	v_perm_b32 v9, v57, v56, s2
	v_pk_add_f32 v[2:3], v[2:3], v[38:39]
	v_pk_add_f32 v[0:1], v[0:1], v[36:37]
	v_mfma_f32_16x16x16_bf16 v[18:21], v[18:19], v[8:9], 0
	v_perm_b32 v8, v59, v61, s2
	v_perm_b32 v9, v63, v62, s2
	v_cvt_pk_bf16_f32 v7, v58, s0
	v_pk_add_f32 v[2:3], v[2:3], v[12:13]
	v_pk_add_f32 v[0:1], v[0:1], v[10:11]
	v_mfma_f32_16x16x16_bf16 v[14:17], v[16:17], v[8:9], 0
	v_perm_b32 v8, v24, v64, s2
	v_perm_b32 v9, v7, v25, s2
	v_pk_add_f32 v[2:3], v[2:3], v[42:43]
	v_pk_add_f32 v[0:1], v[0:1], v[40:41]
	v_mfma_f32_16x16x16_bf16 v[22:25], v[22:23], v[8:9], 0
	v_add_f32_e64 v2, v2, v46
	v_add_f32_e64 v3, v3, v47
	v_pk_add_f32 v[0:1], v[0:1], v[44:45]
	v_pk_add_f32 v[2:3], v[2:3], v[50:51]
	;; [unrolled: 1-line block ×7, first 2 shown]
	v_cmp_le_i32_e64 s[0:1], s15, v31
	v_pk_add_f32 v[2:3], v[2:3], v[24:25]
	v_pk_add_f32 v[0:1], v[0:1], v[22:23]
	s_or_b64 s[28:29], s[0:1], s[28:29]
	s_andn2_b64 exec, exec, s[28:29]
	s_cbranch_execz .LBB1_11
.LBB1_3:                                ; =>This Inner Loop Header: Depth=1
	v_ashrrev_i32_e32 v7, 31, v6
	v_lshl_add_u64 v[24:25], v[6:7], 1, v[4:5]
	v_mov_b32_e32 v8, 0
	v_mov_b32_e32 v12, 0
	;; [unrolled: 1-line block ×5, first 2 shown]
	s_and_saveexec_b64 s[0:1], vcc
	s_cbranch_execz .LBB1_5
; %bb.4:                                ;   in Loop: Header=BB1_3 Depth=1
	global_load_dwordx2 v[12:13], v[24:25], off
	global_load_dwordx2 v[10:11], v[24:25], off offset:32
.LBB1_5:                                ;   in Loop: Header=BB1_3 Depth=1
	s_or_b64 exec, exec, s[0:1]
	v_mov_b32_e32 v9, 0
	v_mov_b32_e32 v14, 0
	;; [unrolled: 1-line block ×3, first 2 shown]
	s_and_saveexec_b64 s[0:1], vcc
	s_cbranch_execz .LBB1_7
; %bb.6:                                ;   in Loop: Header=BB1_3 Depth=1
	global_load_dwordx2 v[8:9], v[24:25], off offset:64
	global_load_dwordx2 v[14:15], v[24:25], off offset:96
.LBB1_7:                                ;   in Loop: Header=BB1_3 Depth=1
	s_or_b64 exec, exec, s[0:1]
	v_mov_b32_e32 v16, 0
	v_mov_b32_e32 v20, 0
	v_mov_b32_e32 v21, 0
	v_mov_b32_e32 v18, 0
	v_mov_b32_e32 v19, 0
	s_and_saveexec_b64 s[0:1], vcc
	s_cbranch_execz .LBB1_9
; %bb.8:                                ;   in Loop: Header=BB1_3 Depth=1
	global_load_dwordx2 v[20:21], v[24:25], off offset:128
	global_load_dwordx2 v[18:19], v[24:25], off offset:160
.LBB1_9:                                ;   in Loop: Header=BB1_3 Depth=1
	s_or_b64 exec, exec, s[0:1]
	v_mov_b32_e32 v17, 0
	v_mov_b32_e32 v22, 0
	;; [unrolled: 1-line block ×3, first 2 shown]
	s_and_saveexec_b64 s[0:1], vcc
	s_cbranch_execz .LBB1_2
; %bb.10:                               ;   in Loop: Header=BB1_3 Depth=1
	global_load_dwordx2 v[16:17], v[24:25], off offset:192
	global_load_dwordx2 v[22:23], v[24:25], off offset:224
	s_branch .LBB1_2
.LBB1_11:
	s_or_b64 exec, exec, s[28:29]
.LBB1_12:
	s_or_b64 exec, exec, s[20:21]
	v_lshl_add_u32 v14, v28, 2, s15
	v_cmp_gt_u32_e32 vcc, s7, v14
	s_and_saveexec_b64 s[0:1], vcc
	s_cbranch_execz .LBB1_18
; %bb.13:
	v_lshl_or_b32 v8, s4, 4, v29
	v_and_b32_e32 v4, 0xfc, v27
	v_mul_lo_u32 v6, s14, v8
	v_lshl_add_u32 v4, v14, 4, v4
	v_ashrrev_i32_e32 v7, 31, v6
	v_lshl_add_u64 v[6:7], v[6:7], 1, s[16:17]
	v_ashrrev_i32_e32 v5, 31, v4
	v_lshl_add_u64 v[12:13], v[4:5], 1, v[6:7]
	v_cmp_gt_i32_e32 vcc, s12, v8
	v_mov_b32_e32 v4, 0
	v_mov_b32_e32 v8, 0
	v_mov_b32_e32 v9, 0
	v_mov_b32_e32 v6, 0
	v_mov_b32_e32 v7, 0
	s_and_saveexec_b64 s[14:15], vcc
	s_cbranch_execz .LBB1_15
; %bb.14:
	global_load_dwordx2 v[8:9], v[12:13], off
	global_load_dwordx2 v[6:7], v[12:13], off offset:32
.LBB1_15:
	s_or_b64 exec, exec, s[14:15]
	v_mov_b32_e32 v5, 0
	v_mov_b32_e32 v10, 0
	v_mov_b32_e32 v11, 0
	s_and_saveexec_b64 s[14:15], vcc
	s_cbranch_execz .LBB1_17
; %bb.16:
	global_load_dwordx2 v[4:5], v[12:13], off offset:64
	global_load_dwordx2 v[10:11], v[12:13], off offset:96
.LBB1_17:
	s_or_b64 exec, exec, s[14:15]
	s_lshr_b32 s2, s5, 30
	s_add_i32 s2, s7, s2
	s_lshr_b32 s2, s2, 2
	s_mul_i32 s2, s2, s3
	v_lshrrev_b32_e32 v12, 2, v14
	v_add_u32_e32 v12, s2, v12
	v_lshl_add_u32 v12, v12, 7, v30
	v_ashrrev_i32_e32 v13, 31, v12
	v_lshrrev_b32_e32 v14, 1, v14
	v_lshl_add_u64 v[12:13], v[12:13], 2, s[18:19]
	v_mul_lo_u32 v14, s6, v14
	global_load_dwordx2 v[12:13], v[12:13], off
	v_lshl_or_b32 v15, s3, 4, v29
	v_lshlrev_b32_e32 v14, 4, v14
	v_add_lshl_u32 v14, v15, v14, 1
	v_ashrrev_i32_e32 v15, 31, v14
	v_lshl_add_u64 v[14:15], v[14:15], 1, s[8:9]
	global_load_dword v16, v[14:15], off
	s_lshl_b32 s6, s6, 5
	s_ashr_i32 s7, s6, 31
	v_lshl_add_u64 v[14:15], s[6:7], 1, v[14:15]
	global_load_dword v14, v[14:15], off
	v_mov_b32_e32 v17, 0xf000f
	v_mov_b32_e32 v18, 0x43004300
	s_waitcnt vmcnt(2)
	;;#ASMSTART
	v_and_or_b32 v19, v12, v17, v18
	;;#ASMEND
	s_mov_b32 s2, 0x5040100
	v_and_b32_e32 v25, 0xffff0000, v19
	v_lshlrev_b32_e32 v19, 16, v19
	v_add_f32_e32 v19, 0xc3080000, v19
	v_cvt_pk_bf16_f32 v19, v19, s0
	v_lshlrev_b32_e32 v19, 16, v19
	v_lshrrev_b32_e32 v20, 4, v12
	v_lshrrev_b32_e32 v21, 8, v12
	;; [unrolled: 1-line block ×6, first 2 shown]
	;;#ASMSTART
	v_and_or_b32 v20, v20, v17, v18
	;;#ASMEND
	;;#ASMSTART
	v_and_or_b32 v21, v21, v17, v18
	;;#ASMEND
	;; [unrolled: 3-line block ×7, first 2 shown]
	v_add_f32_e32 v18, 0xc3080000, v25
	v_and_b32_e32 v24, 0xffff0000, v20
	v_lshlrev_b32_e32 v20, 16, v20
	v_and_b32_e32 v25, 0xffff0000, v21
	v_lshlrev_b32_e32 v21, 16, v21
	;; [unrolled: 2-line block ×3, first 2 shown]
	v_add_f32_e32 v24, 0xc3080000, v24
	v_add_f32_e32 v20, 0xc3080000, v20
	;; [unrolled: 1-line block ×6, first 2 shown]
	v_cvt_pk_bf16_f32 v18, v18, s0
	v_cvt_pk_bf16_f32 v24, v24, s0
	;; [unrolled: 1-line block ×7, first 2 shown]
	s_waitcnt vmcnt(1)
	v_and_b32_e32 v15, 0xffff0000, v16
	v_lshlrev_b32_e32 v16, 16, v16
	v_and_b32_e32 v31, 0xffff0000, v22
	v_lshlrev_b32_e32 v18, 16, v18
	v_lshlrev_b32_e32 v20, 16, v20
	;; [unrolled: 1-line block ×7, first 2 shown]
	v_add_f32_e32 v31, 0xc3080000, v31
	v_fma_f32 v19, v19, v16, v15
	v_fma_f32 v18, v18, v16, v15
	v_fma_f32 v20, v20, v16, v15
	v_fma_f32 v24, v24, v16, v15
	v_fma_f32 v21, v21, v16, v15
	v_fma_f32 v25, v25, v16, v15
	v_fma_f32 v12, v12, v16, v15
	v_fmac_f32_e32 v15, v29, v16
	v_and_b32_e32 v30, 0xffff0000, v13
	v_lshlrev_b32_e32 v13, 16, v13
	v_cvt_pk_bf16_f32 v16, v20, s0
	v_cvt_pk_bf16_f32 v20, v24, s0
	v_cvt_pk_bf16_f32 v24, v25, s0
	v_cvt_pk_bf16_f32 v25, v12, s0
	v_cvt_pk_bf16_f32 v29, v15, s0
	v_cvt_pk_bf16_f32 v12, v31, s0
	v_lshlrev_b32_e32 v15, 16, v22
	v_and_b32_e32 v22, 0xffff0000, v23
	v_lshlrev_b32_e32 v23, 16, v23
	v_add_f32_e32 v13, 0xc3080000, v13
	v_add_f32_e32 v23, 0xc3080000, v23
	s_waitcnt vmcnt(0)
	v_and_b32_e32 v32, 0xffff0000, v14
	v_lshlrev_b32_e32 v33, 16, v14
	v_lshlrev_b32_e32 v12, 16, v12
	v_cvt_pk_bf16_f32 v13, v13, s0
	v_cvt_pk_bf16_f32 v23, v23, s0
	v_fma_f32 v12, v12, v33, v32
	v_add_f32_e32 v30, 0xc3080000, v30
	v_add_f32_e32 v22, 0xc3080000, v22
	v_lshlrev_b32_e32 v13, 16, v13
	v_cvt_pk_bf16_f32 v36, v12, s0
	v_lshlrev_b32_e32 v12, 16, v23
	v_cvt_pk_bf16_f32 v30, v30, s0
	v_cvt_pk_bf16_f32 v22, v22, s0
	v_and_b32_e32 v31, 0xffff0000, v17
	v_lshlrev_b32_e32 v17, 16, v17
	v_fma_f32 v13, v13, v33, v32
	v_fma_f32 v12, v12, v33, v32
	v_add_f32_e32 v15, 0xc3080000, v15
	v_add_f32_e32 v17, 0xc3080000, v17
	v_cvt_pk_bf16_f32 v34, v13, s0
	v_lshlrev_b32_e32 v13, 16, v30
	v_cvt_pk_bf16_f32 v23, v12, s0
	v_lshlrev_b32_e32 v12, 16, v22
	v_cvt_pk_bf16_f32 v15, v15, s0
	v_cvt_pk_bf16_f32 v17, v17, s0
	v_fma_f32 v13, v13, v33, v32
	v_fma_f32 v12, v12, v33, v32
	v_add_f32_e32 v31, 0xc3080000, v31
	v_cvt_pk_bf16_f32 v30, v13, s0
	v_lshlrev_b32_e32 v13, 16, v15
	v_cvt_pk_bf16_f32 v22, v12, s0
	v_lshlrev_b32_e32 v12, 16, v17
	v_cvt_pk_bf16_f32 v19, v19, s0
	v_cvt_pk_bf16_f32 v18, v18, s0
	;; [unrolled: 1-line block ×3, first 2 shown]
	v_fma_f32 v13, v13, v33, v32
	v_fma_f32 v12, v12, v33, v32
	v_cvt_pk_bf16_f32 v21, v21, s0
	v_cvt_pk_bf16_f32 v35, v13, s0
	;; [unrolled: 1-line block ×3, first 2 shown]
	v_perm_b32 v12, v18, v19, s2
	v_perm_b32 v13, v20, v16, s2
	v_lshlrev_b32_e32 v16, 16, v31
	v_fmac_f32_e32 v32, v16, v33
	v_mfma_f32_16x16x16_bf16 v[12:15], v[8:9], v[12:13], 0
	v_perm_b32 v8, v24, v21, s2
	v_perm_b32 v9, v29, v25, s2
	;; [unrolled: 1-line block ×4, first 2 shown]
	v_mfma_f32_16x16x16_bf16 v[6:9], v[6:7], v[8:9], 0
	s_nop 2
	v_add_f32_e64 v2, v2, v14
	v_add_f32_e64 v3, v3, v15
	v_pk_add_f32 v[0:1], v[0:1], v[12:13]
	v_mfma_f32_16x16x16_bf16 v[16:19], v[4:5], v[16:17], 0
	v_cvt_pk_bf16_f32 v5, v32, s0
	v_perm_b32 v4, v22, v23, s2
	v_perm_b32 v5, v5, v37, s2
	v_pk_add_f32 v[2:3], v[2:3], v[8:9]
	v_pk_add_f32 v[0:1], v[0:1], v[6:7]
	v_mfma_f32_16x16x16_bf16 v[20:23], v[10:11], v[4:5], 0
	s_nop 1
	v_add_f32_e64 v2, v2, v18
	v_add_f32_e64 v3, v3, v19
	v_pk_add_f32 v[0:1], v[0:1], v[16:17]
	s_nop 2
	v_pk_add_f32 v[2:3], v[2:3], v[22:23]
	v_pk_add_f32 v[0:1], v[0:1], v[20:21]
.LBB1_18:
	s_or_b64 exec, exec, s[0:1]
	v_lshlrev_b32_e32 v29, 4, v26
	v_lshl_add_u32 v4, v28, 10, v29
	v_cmp_eq_u32_e32 vcc, 0, v28
	ds_write_b128 v4, v[0:3]
	s_waitcnt lgkmcnt(0)
	s_barrier
	s_and_saveexec_b64 s[0:1], vcc
	s_cbranch_execz .LBB1_27
; %bb.19:
	v_add_u32_e32 v6, 12, v29
	v_add_u32_e32 v4, 0x404, v29
	v_add_u32_e32 v5, 0x804, v29
	v_add_u32_e32 v7, 0xc04, v29
	v_add_u32_e32 v8, 0x1004, v29
	v_add_u32_e32 v22, 0x1804, v29
	v_add_u32_e32 v24, 0x1c04, v29
	ds_read2st64_b32 v[0:1], v6 offset1:4
	ds_read2st64_b32 v[2:3], v6 offset0:8 offset1:12
	ds_read2_b32 v[10:11], v29 offset0:1 offset1:2
	ds_read2_b32 v[12:13], v4 offset1:1
	ds_read2_b32 v[14:15], v5 offset1:1
	;; [unrolled: 1-line block ×3, first 2 shown]
	ds_read2st64_b32 v[4:5], v6 offset0:16 offset1:20
	v_add_u32_e32 v9, 0x1404, v29
	ds_read2st64_b32 v[6:7], v6 offset0:24 offset1:28
	ds_read2_b32 v[18:19], v8 offset1:1
	ds_read2_b32 v[20:21], v9 offset1:1
	;; [unrolled: 1-line block ×4, first 2 shown]
	v_and_b32_e32 v8, 0xfc, v27
	v_lshl_add_u32 v27, s4, 4, v8
	s_lshl_b32 s0, s3, 4
	v_mul_lo_u32 v30, s13, v27
	v_and_or_b32 v8, v26, 15, s0
	v_ashrrev_i32_e32 v31, 31, v30
	v_lshl_add_u64 v[30:31], v[30:31], 1, s[10:11]
	v_ashrrev_i32_e32 v9, 31, v8
	v_lshl_add_u64 v[8:9], v[8:9], 1, v[30:31]
	v_cmp_gt_i32_e32 vcc, s12, v27
	s_and_saveexec_b64 s[0:1], vcc
	s_cbranch_execz .LBB1_21
; %bb.20:
	ds_read2st64_b32 v[30:31], v29 offset1:4
	ds_read2st64_b32 v[32:33], v29 offset0:8 offset1:12
	ds_read2st64_b32 v[34:35], v29 offset0:16 offset1:20
	ds_read2st64_b32 v[28:29], v29 offset0:24 offset1:28
	s_waitcnt lgkmcnt(3)
	v_add_f32_e32 v26, 0, v30
	v_add_f32_e32 v26, v26, v31
	s_waitcnt lgkmcnt(2)
	v_add_f32_e32 v26, v26, v32
	v_add_f32_e32 v26, v26, v33
	;; [unrolled: 3-line block ×4, first 2 shown]
	v_cvt_pk_bf16_f32 v26, v26, s0
	global_store_short v[8:9], v26, off
.LBB1_21:
	s_or_b64 exec, exec, s[0:1]
	v_or_b32_e32 v26, 1, v27
	v_cmp_gt_i32_e32 vcc, s12, v26
	s_and_saveexec_b64 s[0:1], vcc
	s_cbranch_execz .LBB1_23
; %bb.22:
	s_waitcnt lgkmcnt(9)
	v_add_f32_e32 v10, 0, v10
	s_waitcnt lgkmcnt(8)
	v_add_f32_e32 v10, v10, v12
	;; [unrolled: 2-line block ×8, first 2 shown]
	s_ashr_i32 s3, s13, 31
	s_mov_b32 s2, s13
	v_cvt_pk_bf16_f32 v10, v10, s0
	v_lshl_add_u64 v[28:29], s[2:3], 1, v[8:9]
	global_store_short v[28:29], v10, off
.LBB1_23:
	s_or_b64 exec, exec, s[0:1]
	s_waitcnt lgkmcnt(9)
	v_or_b32_e32 v10, 2, v27
	v_cmp_gt_i32_e32 vcc, s12, v10
	s_and_saveexec_b64 s[0:1], vcc
	s_cbranch_execz .LBB1_25
; %bb.24:
	v_add_f32_e32 v10, 0, v11
	s_waitcnt lgkmcnt(8)
	v_add_f32_e32 v10, v10, v13
	s_waitcnt lgkmcnt(7)
	;; [unrolled: 2-line block ×6, first 2 shown]
	v_add_f32_e32 v10, v10, v23
	s_lshl_b32 s2, s13, 1
	s_waitcnt lgkmcnt(0)
	v_add_f32_e32 v10, v10, v25
	s_ashr_i32 s3, s2, 31
	v_cvt_pk_bf16_f32 v12, v10, s0
	v_lshl_add_u64 v[10:11], s[2:3], 1, v[8:9]
	global_store_short v[10:11], v12, off
.LBB1_25:
	s_or_b64 exec, exec, s[0:1]
	v_or_b32_e32 v10, 3, v27
	v_cmp_gt_i32_e32 vcc, s12, v10
	s_and_b64 exec, exec, vcc
	s_cbranch_execz .LBB1_27
; %bb.26:
	v_add_f32_e32 v0, 0, v0
	v_add_f32_e32 v0, v0, v1
	;; [unrolled: 1-line block ×4, first 2 shown]
	s_waitcnt lgkmcnt(5)
	v_add_f32_e32 v0, v0, v4
	v_add_f32_e32 v0, v0, v5
	s_waitcnt lgkmcnt(4)
	v_add_f32_e32 v0, v0, v6
	v_add_f32_e32 v0, v0, v7
	v_cvt_pk_bf16_f32 v2, v0, s0
	s_mul_i32 s0, s13, 3
	s_ashr_i32 s1, s0, 31
	v_lshl_add_u64 v[0:1], s[0:1], 1, v[8:9]
	global_store_short v[0:1], v2, off
.LBB1_27:
	s_endpgm
	.section	.rodata,"a",@progbits
	.p2align	6, 0x0
	.amdhsa_kernel _ZN2at6native30tinygemm_m16n8k16_chunk_kernelINS0_10ALayout_RMILNS0_14KReductionTypeE0EEENS0_15BLayout_TC_int4ILi4ELi32EEES4_Li8ELi8EEEvPKvS8_S8_Pviiiiii
		.amdhsa_group_segment_fixed_size 8192
		.amdhsa_private_segment_fixed_size 0
		.amdhsa_kernarg_size 56
		.amdhsa_user_sgpr_count 2
		.amdhsa_user_sgpr_dispatch_ptr 0
		.amdhsa_user_sgpr_queue_ptr 0
		.amdhsa_user_sgpr_kernarg_segment_ptr 1
		.amdhsa_user_sgpr_dispatch_id 0
		.amdhsa_user_sgpr_kernarg_preload_length 0
		.amdhsa_user_sgpr_kernarg_preload_offset 0
		.amdhsa_user_sgpr_private_segment_size 0
		.amdhsa_uses_dynamic_stack 0
		.amdhsa_enable_private_segment 0
		.amdhsa_system_sgpr_workgroup_id_x 1
		.amdhsa_system_sgpr_workgroup_id_y 1
		.amdhsa_system_sgpr_workgroup_id_z 1
		.amdhsa_system_sgpr_workgroup_info 0
		.amdhsa_system_vgpr_workitem_id 1
		.amdhsa_next_free_vgpr 65
		.amdhsa_next_free_sgpr 32
		.amdhsa_accum_offset 68
		.amdhsa_reserve_vcc 1
		.amdhsa_float_round_mode_32 0
		.amdhsa_float_round_mode_16_64 0
		.amdhsa_float_denorm_mode_32 3
		.amdhsa_float_denorm_mode_16_64 3
		.amdhsa_dx10_clamp 1
		.amdhsa_ieee_mode 1
		.amdhsa_fp16_overflow 0
		.amdhsa_tg_split 0
		.amdhsa_exception_fp_ieee_invalid_op 0
		.amdhsa_exception_fp_denorm_src 0
		.amdhsa_exception_fp_ieee_div_zero 0
		.amdhsa_exception_fp_ieee_overflow 0
		.amdhsa_exception_fp_ieee_underflow 0
		.amdhsa_exception_fp_ieee_inexact 0
		.amdhsa_exception_int_div_zero 0
	.end_amdhsa_kernel
	.section	.text._ZN2at6native30tinygemm_m16n8k16_chunk_kernelINS0_10ALayout_RMILNS0_14KReductionTypeE0EEENS0_15BLayout_TC_int4ILi4ELi32EEES4_Li8ELi8EEEvPKvS8_S8_Pviiiiii,"axG",@progbits,_ZN2at6native30tinygemm_m16n8k16_chunk_kernelINS0_10ALayout_RMILNS0_14KReductionTypeE0EEENS0_15BLayout_TC_int4ILi4ELi32EEES4_Li8ELi8EEEvPKvS8_S8_Pviiiiii,comdat
.Lfunc_end1:
	.size	_ZN2at6native30tinygemm_m16n8k16_chunk_kernelINS0_10ALayout_RMILNS0_14KReductionTypeE0EEENS0_15BLayout_TC_int4ILi4ELi32EEES4_Li8ELi8EEEvPKvS8_S8_Pviiiiii, .Lfunc_end1-_ZN2at6native30tinygemm_m16n8k16_chunk_kernelINS0_10ALayout_RMILNS0_14KReductionTypeE0EEENS0_15BLayout_TC_int4ILi4ELi32EEES4_Li8ELi8EEEvPKvS8_S8_Pviiiiii
                                        ; -- End function
	.set _ZN2at6native30tinygemm_m16n8k16_chunk_kernelINS0_10ALayout_RMILNS0_14KReductionTypeE0EEENS0_15BLayout_TC_int4ILi4ELi32EEES4_Li8ELi8EEEvPKvS8_S8_Pviiiiii.num_vgpr, 65
	.set _ZN2at6native30tinygemm_m16n8k16_chunk_kernelINS0_10ALayout_RMILNS0_14KReductionTypeE0EEENS0_15BLayout_TC_int4ILi4ELi32EEES4_Li8ELi8EEEvPKvS8_S8_Pviiiiii.num_agpr, 0
	.set _ZN2at6native30tinygemm_m16n8k16_chunk_kernelINS0_10ALayout_RMILNS0_14KReductionTypeE0EEENS0_15BLayout_TC_int4ILi4ELi32EEES4_Li8ELi8EEEvPKvS8_S8_Pviiiiii.numbered_sgpr, 32
	.set _ZN2at6native30tinygemm_m16n8k16_chunk_kernelINS0_10ALayout_RMILNS0_14KReductionTypeE0EEENS0_15BLayout_TC_int4ILi4ELi32EEES4_Li8ELi8EEEvPKvS8_S8_Pviiiiii.num_named_barrier, 0
	.set _ZN2at6native30tinygemm_m16n8k16_chunk_kernelINS0_10ALayout_RMILNS0_14KReductionTypeE0EEENS0_15BLayout_TC_int4ILi4ELi32EEES4_Li8ELi8EEEvPKvS8_S8_Pviiiiii.private_seg_size, 0
	.set _ZN2at6native30tinygemm_m16n8k16_chunk_kernelINS0_10ALayout_RMILNS0_14KReductionTypeE0EEENS0_15BLayout_TC_int4ILi4ELi32EEES4_Li8ELi8EEEvPKvS8_S8_Pviiiiii.uses_vcc, 1
	.set _ZN2at6native30tinygemm_m16n8k16_chunk_kernelINS0_10ALayout_RMILNS0_14KReductionTypeE0EEENS0_15BLayout_TC_int4ILi4ELi32EEES4_Li8ELi8EEEvPKvS8_S8_Pviiiiii.uses_flat_scratch, 0
	.set _ZN2at6native30tinygemm_m16n8k16_chunk_kernelINS0_10ALayout_RMILNS0_14KReductionTypeE0EEENS0_15BLayout_TC_int4ILi4ELi32EEES4_Li8ELi8EEEvPKvS8_S8_Pviiiiii.has_dyn_sized_stack, 0
	.set _ZN2at6native30tinygemm_m16n8k16_chunk_kernelINS0_10ALayout_RMILNS0_14KReductionTypeE0EEENS0_15BLayout_TC_int4ILi4ELi32EEES4_Li8ELi8EEEvPKvS8_S8_Pviiiiii.has_recursion, 0
	.set _ZN2at6native30tinygemm_m16n8k16_chunk_kernelINS0_10ALayout_RMILNS0_14KReductionTypeE0EEENS0_15BLayout_TC_int4ILi4ELi32EEES4_Li8ELi8EEEvPKvS8_S8_Pviiiiii.has_indirect_call, 0
	.section	.AMDGPU.csdata,"",@progbits
; Kernel info:
; codeLenInByte = 4716
; TotalNumSgprs: 38
; NumVgprs: 65
; NumAgprs: 0
; TotalNumVgprs: 65
; ScratchSize: 0
; MemoryBound: 0
; FloatMode: 240
; IeeeMode: 1
; LDSByteSize: 8192 bytes/workgroup (compile time only)
; SGPRBlocks: 4
; VGPRBlocks: 8
; NumSGPRsForWavesPerEU: 38
; NumVGPRsForWavesPerEU: 65
; AccumOffset: 68
; Occupancy: 7
; WaveLimiterHint : 1
; COMPUTE_PGM_RSRC2:SCRATCH_EN: 0
; COMPUTE_PGM_RSRC2:USER_SGPR: 2
; COMPUTE_PGM_RSRC2:TRAP_HANDLER: 0
; COMPUTE_PGM_RSRC2:TGID_X_EN: 1
; COMPUTE_PGM_RSRC2:TGID_Y_EN: 1
; COMPUTE_PGM_RSRC2:TGID_Z_EN: 1
; COMPUTE_PGM_RSRC2:TIDIG_COMP_CNT: 1
; COMPUTE_PGM_RSRC3_GFX90A:ACCUM_OFFSET: 16
; COMPUTE_PGM_RSRC3_GFX90A:TG_SPLIT: 0
	.section	.text._ZN2at6native30tinygemm_m16n8k16_chunk_kernelINS0_10ALayout_RMILNS0_14KReductionTypeE0EEENS0_15BLayout_TC_int4ILi8ELi32EEES4_Li8ELi8EEEvPKvS8_S8_Pviiiiii,"axG",@progbits,_ZN2at6native30tinygemm_m16n8k16_chunk_kernelINS0_10ALayout_RMILNS0_14KReductionTypeE0EEENS0_15BLayout_TC_int4ILi8ELi32EEES4_Li8ELi8EEEvPKvS8_S8_Pviiiiii,comdat
	.protected	_ZN2at6native30tinygemm_m16n8k16_chunk_kernelINS0_10ALayout_RMILNS0_14KReductionTypeE0EEENS0_15BLayout_TC_int4ILi8ELi32EEES4_Li8ELi8EEEvPKvS8_S8_Pviiiiii ; -- Begin function _ZN2at6native30tinygemm_m16n8k16_chunk_kernelINS0_10ALayout_RMILNS0_14KReductionTypeE0EEENS0_15BLayout_TC_int4ILi8ELi32EEES4_Li8ELi8EEEvPKvS8_S8_Pviiiiii
	.globl	_ZN2at6native30tinygemm_m16n8k16_chunk_kernelINS0_10ALayout_RMILNS0_14KReductionTypeE0EEENS0_15BLayout_TC_int4ILi8ELi32EEES4_Li8ELi8EEEvPKvS8_S8_Pviiiiii
	.p2align	8
	.type	_ZN2at6native30tinygemm_m16n8k16_chunk_kernelINS0_10ALayout_RMILNS0_14KReductionTypeE0EEENS0_15BLayout_TC_int4ILi8ELi32EEES4_Li8ELi8EEEvPKvS8_S8_Pviiiiii,@function
_ZN2at6native30tinygemm_m16n8k16_chunk_kernelINS0_10ALayout_RMILNS0_14KReductionTypeE0EEENS0_15BLayout_TC_int4ILi8ELi32EEES4_Li8ELi8EEEvPKvS8_S8_Pviiiiii: ; @_ZN2at6native30tinygemm_m16n8k16_chunk_kernelINS0_10ALayout_RMILNS0_14KReductionTypeE0EEENS0_15BLayout_TC_int4ILi8ELi32EEES4_Li8ELi8EEEvPKvS8_S8_Pviiiiii
; %bb.0:
	s_load_dwordx2 s[6:7], s[0:1], 0x30
	s_load_dwordx4 s[16:19], s[0:1], 0x0
	s_load_dwordx8 s[8:15], s[0:1], 0x10
	v_bfe_u32 v30, v0, 10, 10
	v_lshlrev_b32_e32 v33, 3, v30
	s_waitcnt lgkmcnt(0)
	s_ashr_i32 s0, s7, 31
	s_lshr_b32 s0, s0, 29
	s_add_i32 s0, s7, s0
	v_and_b32_e32 v28, 0x3ff, v0
	s_ashr_i32 s5, s0, 3
	s_and_b32 s15, s0, -8
	v_lshl_add_u32 v34, s2, 6, v33
	v_mov_b32_e32 v0, 0
	v_cmp_gt_i32_e32 vcc, s15, v34
	v_mov_b32_e32 v1, v0
	v_mov_b32_e32 v2, v0
	;; [unrolled: 1-line block ×3, first 2 shown]
	s_mul_i32 s5, s5, s3
	v_and_b32_e32 v31, 15, v28
	v_lshrrev_b32_e32 v29, 2, v28
	v_lshlrev_b32_e32 v32, 2, v28
	s_mul_i32 s20, s6, 0x60
	s_and_saveexec_b64 s[22:23], vcc
	s_cbranch_execz .LBB2_12
; %bb.1:
	v_lshl_or_b32 v1, s4, 4, v31
	v_mul_lo_u32 v2, s14, v1
	v_and_b32_e32 v4, 0xfc, v29
	v_ashrrev_i32_e32 v3, 31, v2
	v_cmp_gt_i32_e32 vcc, s12, v1
	s_lshl_b32 s24, s6, 5
	s_lshl_b32 s26, s6, 6
	;; [unrolled: 1-line block ×3, first 2 shown]
	v_lshlrev_b32_e32 v1, 7, v30
	v_lshl_add_u64 v[8:9], v[2:3], 1, s[16:17]
	s_lshl_b32 s30, s6, 4
	s_ashr_i32 s25, s24, 31
	s_ashr_i32 s27, s26, 31
	;; [unrolled: 1-line block ×3, first 2 shown]
	v_add3_u32 v10, s0, v1, v4
	s_mov_b64 s[28:29], 0
	v_mov_b32_e32 v35, 0xf000f
	v_mov_b32_e32 v36, 0x43004300
	s_mov_b32 s2, 0x5040100
	v_mov_b32_e32 v1, v0
	v_mov_b32_e32 v2, v0
	;; [unrolled: 1-line block ×3, first 2 shown]
	s_branch .LBB2_3
.LBB2_2:                                ;   in Loop: Header=BB2_3 Depth=1
	s_or_b64 exec, exec, s[0:1]
	v_lshrrev_b32_e32 v4, 3, v34
	v_add_u32_e32 v4, s5, v4
	v_lshl_add_u32 v4, v4, 8, v32
	v_ashrrev_i32_e32 v5, 31, v4
	v_lshl_add_u64 v[4:5], v[4:5], 2, s[18:19]
	global_load_dwordx4 v[4:7], v[4:5], off
	v_lshrrev_b32_e32 v11, 1, v34
	v_mul_lo_u32 v11, s30, v11
	v_lshl_or_b32 v37, s3, 4, v31
	v_add_lshl_u32 v38, v37, v11, 1
	v_ashrrev_i32_e32 v39, 31, v38
	v_lshl_add_u64 v[38:39], v[38:39], 1, s[8:9]
	global_load_dword v37, v[38:39], off
	v_lshl_add_u64 v[40:41], s[24:25], 1, v[38:39]
	v_lshl_add_u64 v[42:43], s[26:27], 1, v[38:39]
	;; [unrolled: 1-line block ×3, first 2 shown]
	global_load_dword v44, v[40:41], off
	global_load_dword v45, v[42:43], off
	;; [unrolled: 1-line block ×3, first 2 shown]
	s_waitcnt vmcnt(4)
	;;#ASMSTART
	v_and_or_b32 v38, v4, v35, v36
	;;#ASMEND
	v_add_u32_e32 v34, 64, v34
	v_and_b32_e32 v53, 0xffff0000, v38
	v_lshlrev_b32_e32 v38, 16, v38
	v_add_f32_e32 v53, 0xc3080000, v53
	v_add_f32_e32 v38, 0xc3080000, v38
	v_cvt_pk_bf16_f32 v53, v53, s0
	v_cvt_pk_bf16_f32 v38, v38, s0
	v_lshlrev_b32_e32 v38, 16, v38
	v_lshlrev_b32_e32 v53, 16, v53
	v_add_u32_e32 v10, 0x400, v10
	v_lshrrev_b32_e32 v39, 4, v4
	v_lshrrev_b32_e32 v40, 8, v4
	;; [unrolled: 1-line block ×3, first 2 shown]
	;;#ASMSTART
	v_and_or_b32 v39, v39, v35, v36
	;;#ASMEND
	;;#ASMSTART
	v_and_or_b32 v40, v40, v35, v36
	;;#ASMEND
	;;#ASMSTART
	v_and_or_b32 v4, v4, v35, v36
	;;#ASMEND
	v_lshrrev_b32_e32 v42, 4, v5
	v_and_b32_e32 v56, 0xffff0000, v4
	v_lshlrev_b32_e32 v4, 16, v4
	v_and_b32_e32 v54, 0xffff0000, v39
	v_lshlrev_b32_e32 v39, 16, v39
	v_and_b32_e32 v55, 0xffff0000, v40
	v_lshlrev_b32_e32 v40, 16, v40
	v_add_f32_e32 v4, 0xc3080000, v4
	v_lshrrev_b32_e32 v43, 8, v5
	v_lshrrev_b32_e32 v46, 12, v5
	;;#ASMSTART
	v_and_or_b32 v5, v5, v35, v36
	;;#ASMEND
	;;#ASMSTART
	v_and_or_b32 v42, v42, v35, v36
	;;#ASMEND
	v_add_f32_e32 v54, 0xc3080000, v54
	v_add_f32_e32 v39, 0xc3080000, v39
	;; [unrolled: 1-line block ×5, first 2 shown]
	v_cvt_pk_bf16_f32 v4, v4, s0
	s_waitcnt vmcnt(3)
	v_and_b32_e32 v41, 0xffff0000, v37
	v_lshlrev_b32_e32 v37, 16, v37
	v_and_b32_e32 v58, 0xffff0000, v42
	v_lshlrev_b32_e32 v42, 16, v42
	v_cvt_pk_bf16_f32 v54, v54, s0
	v_cvt_pk_bf16_f32 v39, v39, s0
	;; [unrolled: 1-line block ×5, first 2 shown]
	v_lshlrev_b32_e32 v4, 16, v4
	;;#ASMSTART
	v_and_or_b32 v43, v43, v35, v36
	;;#ASMEND
	v_lshlrev_b32_e32 v39, 16, v39
	v_lshlrev_b32_e32 v54, 16, v54
	v_lshlrev_b32_e32 v40, 16, v40
	v_lshlrev_b32_e32 v55, 16, v55
	v_lshlrev_b32_e32 v56, 16, v56
	v_fma_f32 v59, v4, v37, v41
	v_add_f32_e32 v4, 0xc3080000, v42
	v_and_b32_e32 v57, 0xffff0000, v5
	v_add_f32_e32 v58, 0xc3080000, v58
	v_fma_f32 v38, v38, v37, v41
	v_fma_f32 v53, v53, v37, v41
	;; [unrolled: 1-line block ×6, first 2 shown]
	v_fmac_f32_e32 v41, v56, v37
	v_cvt_pk_bf16_f32 v4, v4, s0
	v_and_b32_e32 v56, 0xffff0000, v43
	v_lshlrev_b32_e32 v43, 16, v43
	;;#ASMSTART
	v_and_or_b32 v46, v46, v35, v36
	;;#ASMEND
	v_add_f32_e32 v57, 0xc3080000, v57
	v_cvt_pk_bf16_f32 v42, v58, s0
	v_add_f32_e32 v43, 0xc3080000, v43
	s_waitcnt vmcnt(2)
	v_and_b32_e32 v58, 0xffff0000, v44
	v_lshlrev_b32_e32 v44, 16, v44
	v_lshlrev_b32_e32 v4, 16, v4
	;; [unrolled: 1-line block ×3, first 2 shown]
	v_cvt_pk_bf16_f32 v37, v57, s0
	v_add_f32_e32 v56, 0xc3080000, v56
	v_cvt_pk_bf16_f32 v43, v43, s0
	v_and_b32_e32 v57, 0xffff0000, v46
	v_lshlrev_b32_e32 v46, 16, v46
	v_fma_f32 v61, v4, v44, v58
	v_lshlrev_b32_e32 v4, 16, v42
	v_add_f32_e32 v5, 0xc3080000, v5
	v_cvt_pk_bf16_f32 v56, v56, s0
	v_add_f32_e32 v46, 0xc3080000, v46
	v_fma_f32 v42, v4, v44, v58
	v_lshlrev_b32_e32 v4, 16, v43
	v_cvt_pk_bf16_f32 v5, v5, s0
	v_add_f32_e32 v57, 0xc3080000, v57
	v_cvt_pk_bf16_f32 v46, v46, s0
	v_fma_f32 v43, v4, v44, v58
	v_lshlrev_b32_e32 v4, 16, v56
	v_cvt_pk_bf16_f32 v57, v57, s0
	v_lshlrev_b32_e32 v5, 16, v5
	v_fma_f32 v56, v4, v44, v58
	v_lshlrev_b32_e32 v4, 16, v46
	v_fma_f32 v60, v5, v44, v58
	;; [unrolled: 2-line block ×3, first 2 shown]
	v_lshlrev_b32_e32 v4, 16, v57
	v_lshrrev_b32_e32 v47, 4, v6
	v_lshrrev_b32_e32 v48, 8, v6
	;; [unrolled: 1-line block ×3, first 2 shown]
	;;#ASMSTART
	v_and_or_b32 v6, v6, v35, v36
	;;#ASMEND
	v_fma_f32 v37, v5, v44, v58
	v_fmac_f32_e32 v58, v4, v44
	v_and_b32_e32 v4, 0xffff0000, v6
	;;#ASMSTART
	v_and_or_b32 v47, v47, v35, v36
	;;#ASMEND
	v_add_f32_e32 v4, 0xc3080000, v4
	v_lshlrev_b32_e32 v44, 16, v47
	;;#ASMSTART
	v_and_or_b32 v48, v48, v35, v36
	;;#ASMEND
	v_cvt_pk_bf16_f32 v4, v4, s0
	v_lshlrev_b32_e32 v5, 16, v6
	v_and_b32_e32 v6, 0xffff0000, v47
	v_add_f32_e32 v44, 0xc3080000, v44
	v_add_f32_e32 v6, 0xc3080000, v6
	v_cvt_pk_bf16_f32 v44, v44, s0
	v_and_b32_e32 v47, 0xffff0000, v48
	v_lshlrev_b32_e32 v48, 16, v48
	s_waitcnt vmcnt(1)
	v_and_b32_e32 v62, 0xffff0000, v45
	v_lshlrev_b32_e32 v45, 16, v45
	v_lshlrev_b32_e32 v4, 16, v4
	;;#ASMSTART
	v_and_or_b32 v49, v49, v35, v36
	;;#ASMEND
	v_cvt_pk_bf16_f32 v6, v6, s0
	v_add_f32_e32 v48, 0xc3080000, v48
	v_fma_f32 v64, v4, v45, v62
	v_lshlrev_b32_e32 v4, 16, v44
	v_add_f32_e32 v47, 0xc3080000, v47
	v_cvt_pk_bf16_f32 v48, v48, s0
	v_and_b32_e32 v57, 0xffff0000, v49
	v_lshlrev_b32_e32 v49, 16, v49
	v_fma_f32 v44, v4, v45, v62
	v_lshlrev_b32_e32 v4, 16, v6
	v_cvt_pk_bf16_f32 v47, v47, s0
	v_add_f32_e32 v49, 0xc3080000, v49
	v_fma_f32 v6, v4, v45, v62
	v_lshlrev_b32_e32 v4, 16, v48
	v_add_f32_e32 v5, 0xc3080000, v5
	v_add_f32_e32 v57, 0xc3080000, v57
	v_cvt_pk_bf16_f32 v49, v49, s0
	v_fma_f32 v48, v4, v45, v62
	v_lshlrev_b32_e32 v4, 16, v47
	v_cvt_pk_bf16_f32 v5, v5, s0
	v_cvt_pk_bf16_f32 v57, v57, s0
	v_fma_f32 v47, v4, v45, v62
	v_lshlrev_b32_e32 v4, 16, v49
	v_lshlrev_b32_e32 v5, 16, v5
	v_fma_f32 v49, v4, v45, v62
	v_lshlrev_b32_e32 v4, 16, v57
	v_fma_f32 v63, v5, v45, v62
	v_fmac_f32_e32 v62, v4, v45
	v_cvt_pk_bf16_f32 v4, v38, s0
	v_cvt_pk_bf16_f32 v5, v53, s0
	;; [unrolled: 1-line block ×4, first 2 shown]
	v_perm_b32 v4, v5, v4, s2
	v_perm_b32 v5, v39, v38, s2
	v_cvt_pk_bf16_f32 v38, v40, s0
	v_cvt_pk_bf16_f32 v39, v55, s0
	;; [unrolled: 1-line block ×4, first 2 shown]
	v_lshrrev_b32_e32 v50, 4, v7
	v_lshrrev_b32_e32 v51, 8, v7
	;; [unrolled: 1-line block ×3, first 2 shown]
	;;#ASMSTART
	v_and_or_b32 v7, v7, v35, v36
	;;#ASMEND
	v_perm_b32 v38, v39, v38, s2
	v_perm_b32 v39, v41, v40, s2
	v_cvt_pk_bf16_f32 v41, v61, s0
	v_cvt_pk_bf16_f32 v42, v42, s0
	;; [unrolled: 1-line block ×9, first 2 shown]
	;;#ASMSTART
	v_and_or_b32 v6, v50, v35, v36
	;;#ASMEND
	;;#ASMSTART
	v_and_or_b32 v44, v51, v35, v36
	;;#ASMEND
	v_and_b32_e32 v48, 0xffff0000, v7
	v_lshlrev_b32_e32 v7, 16, v7
	v_perm_b32 v41, v42, v41, s2
	v_and_b32_e32 v42, 0xffff0000, v44
	v_add_f32_e32 v7, 0xc3080000, v7
	v_perm_b32 v40, v37, v40, s2
	v_and_b32_e32 v37, 0xffff0000, v6
	v_lshlrev_b32_e32 v6, 16, v6
	v_add_f32_e32 v42, 0xc3080000, v42
	v_cvt_pk_bf16_f32 v60, v49, s0
	v_cvt_pk_bf16_f32 v7, v7, s0
	v_add_f32_e32 v6, 0xc3080000, v6
	v_cvt_pk_bf16_f32 v49, v42, s0
	v_lshlrev_b32_e32 v42, 16, v44
	v_cvt_pk_bf16_f32 v43, v43, s0
	v_add_f32_e32 v48, 0xc3080000, v48
	v_cvt_pk_bf16_f32 v6, v6, s0
	v_add_f32_e32 v42, 0xc3080000, v42
	v_lshlrev_b32_e32 v7, 16, v7
	s_waitcnt vmcnt(0)
	v_and_b32_e32 v51, 0xffff0000, v11
	v_lshlrev_b32_e32 v11, 16, v11
	v_cvt_pk_bf16_f32 v59, v47, s0
	;;#ASMSTART
	v_and_or_b32 v47, v52, v35, v36
	;;#ASMEND
	v_cvt_pk_bf16_f32 v48, v48, s0
	v_add_f32_e32 v37, 0xc3080000, v37
	v_cvt_pk_bf16_f32 v44, v42, s0
	v_perm_b32 v42, v45, v43, s2
	v_and_b32_e32 v45, 0xffff0000, v47
	v_fma_f32 v7, v7, v11, v51
	v_lshlrev_b32_e32 v6, 16, v6
	v_cvt_pk_bf16_f32 v37, v37, s0
	v_add_f32_e32 v45, 0xc3080000, v45
	v_cvt_pk_bf16_f32 v52, v7, s0
	v_lshlrev_b32_e32 v7, 16, v48
	v_fma_f32 v6, v6, v11, v51
	v_cvt_pk_bf16_f32 v46, v46, s0
	v_cvt_pk_bf16_f32 v61, v62, s0
	;; [unrolled: 1-line block ×3, first 2 shown]
	v_lshlrev_b32_e32 v45, 16, v47
	v_fma_f32 v7, v7, v11, v51
	v_cvt_pk_bf16_f32 v62, v6, s0
	v_lshlrev_b32_e32 v6, 16, v37
	v_perm_b32 v43, v53, v46, s2
	v_add_f32_e32 v45, 0xc3080000, v45
	v_cvt_pk_bf16_f32 v53, v7, s0
	v_fma_f32 v37, v6, v11, v51
	v_mfma_f32_16x16x16_bf16 v[4:7], v[16:17], v[4:5], 0
	v_lshlrev_b32_e32 v16, 16, v44
	v_cvt_pk_bf16_f32 v45, v45, s0
	v_fma_f32 v44, v16, v11, v51
	v_mfma_f32_16x16x16_bf16 v[14:17], v[14:15], v[38:39], 0
	v_lshlrev_b32_e32 v38, 16, v49
	v_cvt_pk_bf16_f32 v54, v63, s0
	v_cvt_pk_bf16_f32 v63, v44, s0
	v_fma_f32 v44, v38, v11, v51
	v_mfma_f32_16x16x16_bf16 v[38:41], v[12:13], v[40:41], 0
	v_lshlrev_b32_e32 v12, 16, v45
	v_cvt_pk_bf16_f32 v55, v64, s0
	v_fma_f32 v12, v12, v11, v51
	v_cvt_pk_bf16_f32 v64, v44, s0
	v_mfma_f32_16x16x16_bf16 v[42:45], v[18:19], v[42:43], 0
	v_cvt_pk_bf16_f32 v65, v12, s0
	v_perm_b32 v12, v55, v54, s2
	v_perm_b32 v13, v57, v56, s2
	v_lshlrev_b32_e32 v18, 16, v50
	v_cvt_pk_bf16_f32 v37, v37, s0
	v_mfma_f32_16x16x16_bf16 v[46:49], v[24:25], v[12:13], 0
	v_perm_b32 v12, v59, v58, s2
	v_perm_b32 v13, v61, v60, s2
	v_fmac_f32_e32 v51, v18, v11
	v_pk_add_f32 v[2:3], v[2:3], v[6:7]
	v_pk_add_f32 v[0:1], v[0:1], v[4:5]
	v_mfma_f32_16x16x16_bf16 v[22:25], v[22:23], v[12:13], 0
	v_perm_b32 v12, v53, v52, s2
	v_perm_b32 v13, v37, v62, s2
	v_cvt_pk_bf16_f32 v11, v51, s0
	v_pk_add_f32 v[2:3], v[2:3], v[16:17]
	v_pk_add_f32 v[0:1], v[0:1], v[14:15]
	v_mfma_f32_16x16x16_bf16 v[18:21], v[20:21], v[12:13], 0
	v_perm_b32 v12, v64, v63, s2
	v_perm_b32 v13, v11, v65, s2
	v_pk_add_f32 v[2:3], v[2:3], v[40:41]
	v_pk_add_f32 v[0:1], v[0:1], v[38:39]
	v_mfma_f32_16x16x16_bf16 v[50:53], v[26:27], v[12:13], 0
	v_add_f32_e64 v2, v2, v44
	v_add_f32_e64 v3, v3, v45
	v_pk_add_f32 v[0:1], v[0:1], v[42:43]
	v_pk_add_f32 v[2:3], v[2:3], v[48:49]
	;; [unrolled: 1-line block ×7, first 2 shown]
	v_cmp_le_i32_e64 s[0:1], s15, v34
	v_pk_add_f32 v[2:3], v[2:3], v[52:53]
	v_pk_add_f32 v[0:1], v[0:1], v[50:51]
	s_or_b64 s[28:29], s[0:1], s[28:29]
	s_andn2_b64 exec, exec, s[28:29]
	s_cbranch_execz .LBB2_11
.LBB2_3:                                ; =>This Inner Loop Header: Depth=1
	v_ashrrev_i32_e32 v11, 31, v10
	v_lshl_add_u64 v[4:5], v[10:11], 1, v[8:9]
	v_mov_b32_e32 v12, 0
	v_mov_b32_e32 v16, 0
	v_mov_b32_e32 v17, 0
	v_mov_b32_e32 v14, 0
	v_mov_b32_e32 v15, 0
	s_and_saveexec_b64 s[0:1], vcc
	s_cbranch_execz .LBB2_5
; %bb.4:                                ;   in Loop: Header=BB2_3 Depth=1
	global_load_dwordx2 v[16:17], v[4:5], off
	global_load_dwordx2 v[14:15], v[4:5], off offset:32
.LBB2_5:                                ;   in Loop: Header=BB2_3 Depth=1
	s_or_b64 exec, exec, s[0:1]
	v_mov_b32_e32 v13, 0
	v_mov_b32_e32 v18, 0
	;; [unrolled: 1-line block ×3, first 2 shown]
	s_and_saveexec_b64 s[0:1], vcc
	s_cbranch_execz .LBB2_7
; %bb.6:                                ;   in Loop: Header=BB2_3 Depth=1
	global_load_dwordx2 v[12:13], v[4:5], off offset:64
	global_load_dwordx2 v[18:19], v[4:5], off offset:96
.LBB2_7:                                ;   in Loop: Header=BB2_3 Depth=1
	s_or_b64 exec, exec, s[0:1]
	v_mov_b32_e32 v20, 0
	v_mov_b32_e32 v24, 0
	;; [unrolled: 1-line block ×5, first 2 shown]
	s_and_saveexec_b64 s[0:1], vcc
	s_cbranch_execz .LBB2_9
; %bb.8:                                ;   in Loop: Header=BB2_3 Depth=1
	global_load_dwordx2 v[24:25], v[4:5], off offset:128
	global_load_dwordx2 v[22:23], v[4:5], off offset:160
.LBB2_9:                                ;   in Loop: Header=BB2_3 Depth=1
	s_or_b64 exec, exec, s[0:1]
	v_mov_b32_e32 v21, 0
	v_mov_b32_e32 v26, 0
	;; [unrolled: 1-line block ×3, first 2 shown]
	s_and_saveexec_b64 s[0:1], vcc
	s_cbranch_execz .LBB2_2
; %bb.10:                               ;   in Loop: Header=BB2_3 Depth=1
	global_load_dwordx2 v[20:21], v[4:5], off offset:192
	global_load_dwordx2 v[26:27], v[4:5], off offset:224
	s_branch .LBB2_2
.LBB2_11:
	s_or_b64 exec, exec, s[28:29]
.LBB2_12:
	s_or_b64 exec, exec, s[22:23]
	v_add_u32_e32 v24, s15, v33
	v_cmp_gt_u32_e32 vcc, s7, v24
	s_and_saveexec_b64 s[0:1], vcc
	s_cbranch_execz .LBB2_22
; %bb.13:
	v_lshl_or_b32 v8, s4, 4, v31
	v_and_b32_e32 v4, 0xfc, v29
	v_mul_lo_u32 v6, s14, v8
	v_lshl_add_u32 v4, v24, 4, v4
	v_ashrrev_i32_e32 v7, 31, v6
	v_lshl_add_u64 v[6:7], v[6:7], 1, s[16:17]
	v_ashrrev_i32_e32 v5, 31, v4
	v_lshl_add_u64 v[4:5], v[4:5], 1, v[6:7]
	v_cmp_gt_i32_e32 vcc, s12, v8
	v_mov_b32_e32 v8, 0
	v_mov_b32_e32 v12, 0
	;; [unrolled: 1-line block ×5, first 2 shown]
	s_and_saveexec_b64 s[14:15], vcc
	s_cbranch_execz .LBB2_15
; %bb.14:
	global_load_dwordx2 v[12:13], v[4:5], off
	global_load_dwordx2 v[10:11], v[4:5], off offset:32
.LBB2_15:
	s_or_b64 exec, exec, s[14:15]
	v_mov_b32_e32 v9, 0
	v_mov_b32_e32 v14, 0
	;; [unrolled: 1-line block ×3, first 2 shown]
	s_and_saveexec_b64 s[14:15], vcc
	s_cbranch_execz .LBB2_17
; %bb.16:
	global_load_dwordx2 v[8:9], v[4:5], off offset:64
	global_load_dwordx2 v[14:15], v[4:5], off offset:96
.LBB2_17:
	s_or_b64 exec, exec, s[14:15]
	v_mov_b32_e32 v16, 0
	v_mov_b32_e32 v20, 0
	;; [unrolled: 1-line block ×5, first 2 shown]
	s_and_saveexec_b64 s[14:15], vcc
	s_cbranch_execz .LBB2_19
; %bb.18:
	global_load_dwordx2 v[20:21], v[4:5], off offset:128
	global_load_dwordx2 v[18:19], v[4:5], off offset:160
.LBB2_19:
	s_or_b64 exec, exec, s[14:15]
	v_mov_b32_e32 v17, 0
	v_mov_b32_e32 v22, 0
	;; [unrolled: 1-line block ×3, first 2 shown]
	s_and_saveexec_b64 s[14:15], vcc
	s_cbranch_execz .LBB2_21
; %bb.20:
	global_load_dwordx2 v[16:17], v[4:5], off offset:192
	global_load_dwordx2 v[22:23], v[4:5], off offset:224
.LBB2_21:
	s_or_b64 exec, exec, s[14:15]
	v_lshrrev_b32_e32 v4, 3, v24
	v_add_u32_e32 v4, s5, v4
	v_lshl_add_u32 v4, v4, 8, v32
	v_ashrrev_i32_e32 v5, 31, v4
	v_lshl_add_u64 v[4:5], v[4:5], 2, s[18:19]
	v_lshrrev_b32_e32 v24, 1, v24
	global_load_dwordx4 v[4:7], v[4:5], off
	v_mul_lo_u32 v24, s6, v24
	v_lshl_or_b32 v25, s3, 4, v31
	v_lshlrev_b32_e32 v24, 4, v24
	v_add_lshl_u32 v24, v25, v24, 1
	v_ashrrev_i32_e32 v25, 31, v24
	v_lshl_add_u64 v[24:25], v[24:25], 1, s[8:9]
	global_load_dword v31, v[24:25], off
	s_lshl_b32 s8, s6, 5
	s_lshl_b32 s6, s6, 6
	s_ashr_i32 s9, s8, 31
	s_ashr_i32 s21, s20, 31
	;; [unrolled: 1-line block ×3, first 2 shown]
	v_lshl_add_u64 v[26:27], s[8:9], 1, v[24:25]
	v_lshl_add_u64 v[32:33], s[6:7], 1, v[24:25]
	;; [unrolled: 1-line block ×3, first 2 shown]
	global_load_dword v36, v[26:27], off
	global_load_dword v37, v[32:33], off
	;; [unrolled: 1-line block ×3, first 2 shown]
	v_mov_b32_e32 v34, 0xf000f
	v_mov_b32_e32 v35, 0x43004300
	s_waitcnt vmcnt(4)
	;;#ASMSTART
	v_and_or_b32 v24, v4, v34, v35
	;;#ASMEND
	s_mov_b32 s2, 0x5040100
	v_and_b32_e32 v39, 0xffff0000, v24
	v_lshlrev_b32_e32 v24, 16, v24
	v_add_f32_e32 v39, 0xc3080000, v39
	v_add_f32_e32 v24, 0xc3080000, v24
	v_cvt_pk_bf16_f32 v39, v39, s0
	v_cvt_pk_bf16_f32 v24, v24, s0
	v_lshlrev_b32_e32 v24, 16, v24
	v_lshlrev_b32_e32 v39, 16, v39
	v_lshrrev_b32_e32 v25, 4, v4
	v_lshrrev_b32_e32 v26, 8, v4
	;; [unrolled: 1-line block ×3, first 2 shown]
	;;#ASMSTART
	v_and_or_b32 v25, v25, v34, v35
	;;#ASMEND
	;;#ASMSTART
	v_and_or_b32 v26, v26, v34, v35
	;;#ASMEND
	;; [unrolled: 3-line block ×3, first 2 shown]
	v_lshrrev_b32_e32 v27, 4, v5
	v_and_b32_e32 v41, 0xffff0000, v25
	v_and_b32_e32 v42, 0xffff0000, v26
	;; [unrolled: 1-line block ×3, first 2 shown]
	v_lshlrev_b32_e32 v4, 16, v4
	v_lshlrev_b32_e32 v25, 16, v25
	;; [unrolled: 1-line block ×3, first 2 shown]
	v_add_f32_e32 v41, 0xc3080000, v41
	v_add_f32_e32 v42, 0xc3080000, v42
	;; [unrolled: 1-line block ×6, first 2 shown]
	v_cvt_pk_bf16_f32 v41, v41, s0
	v_cvt_pk_bf16_f32 v42, v42, s0
	;; [unrolled: 1-line block ×3, first 2 shown]
	v_lshrrev_b32_e32 v32, 8, v5
	v_lshrrev_b32_e32 v33, 12, v5
	s_waitcnt vmcnt(3)
	v_and_b32_e32 v40, 0xffff0000, v31
	v_lshlrev_b32_e32 v31, 16, v31
	;;#ASMSTART
	v_and_or_b32 v5, v5, v34, v35
	;;#ASMEND
	v_cvt_pk_bf16_f32 v25, v25, s0
	v_and_b32_e32 v44, 0xffff0000, v5
	v_cvt_pk_bf16_f32 v26, v26, s0
	v_cvt_pk_bf16_f32 v43, v43, s0
	v_lshlrev_b32_e32 v41, 16, v41
	v_lshlrev_b32_e32 v42, 16, v42
	;; [unrolled: 1-line block ×3, first 2 shown]
	;;#ASMSTART
	v_and_or_b32 v27, v27, v34, v35
	;;#ASMEND
	v_add_f32_e32 v44, 0xc3080000, v44
	v_lshlrev_b32_e32 v25, 16, v25
	v_lshlrev_b32_e32 v26, 16, v26
	;; [unrolled: 1-line block ×3, first 2 shown]
	v_fma_f32 v41, v41, v31, v40
	v_fma_f32 v42, v42, v31, v40
	;; [unrolled: 1-line block ×7, first 2 shown]
	v_fmac_f32_e32 v40, v43, v31
	v_cvt_pk_bf16_f32 v31, v41, s0
	v_cvt_pk_bf16_f32 v41, v42, s0
	;; [unrolled: 1-line block ×4, first 2 shown]
	v_and_b32_e32 v43, 0xffff0000, v27
	v_lshlrev_b32_e32 v27, 16, v27
	v_add_f32_e32 v27, 0xc3080000, v27
	s_waitcnt vmcnt(2)
	v_and_b32_e32 v46, 0xffff0000, v36
	v_lshlrev_b32_e32 v36, 16, v36
	v_lshlrev_b32_e32 v4, 16, v4
	v_cvt_pk_bf16_f32 v27, v27, s0
	v_fma_f32 v4, v4, v36, v46
	;;#ASMSTART
	v_and_or_b32 v32, v32, v34, v35
	;;#ASMEND
	v_add_f32_e32 v43, 0xc3080000, v43
	v_cvt_pk_bf16_f32 v48, v4, s0
	v_lshlrev_b32_e32 v4, 16, v27
	v_cvt_pk_bf16_f32 v43, v43, s0
	v_and_b32_e32 v44, 0xffff0000, v32
	v_lshlrev_b32_e32 v32, 16, v32
	v_fma_f32 v4, v4, v36, v46
	v_add_f32_e32 v32, 0xc3080000, v32
	v_cvt_pk_bf16_f32 v27, v4, s0
	v_lshlrev_b32_e32 v4, 16, v43
	v_cvt_pk_bf16_f32 v32, v32, s0
	v_fma_f32 v4, v4, v36, v46
	;;#ASMSTART
	v_and_or_b32 v33, v33, v34, v35
	;;#ASMEND
	v_add_f32_e32 v44, 0xc3080000, v44
	v_cvt_pk_bf16_f32 v43, v4, s0
	v_lshlrev_b32_e32 v4, 16, v32
	v_cvt_pk_bf16_f32 v44, v44, s0
	v_and_b32_e32 v45, 0xffff0000, v33
	v_lshlrev_b32_e32 v33, 16, v33
	v_fma_f32 v4, v4, v36, v46
	v_add_f32_e32 v33, 0xc3080000, v33
	v_cvt_pk_bf16_f32 v32, v4, s0
	v_lshlrev_b32_e32 v4, 16, v44
	v_lshlrev_b32_e32 v5, 16, v5
	v_cvt_pk_bf16_f32 v33, v33, s0
	v_fma_f32 v4, v4, v36, v46
	v_add_f32_e32 v5, 0xc3080000, v5
	v_add_f32_e32 v45, 0xc3080000, v45
	v_cvt_pk_bf16_f32 v44, v4, s0
	v_lshlrev_b32_e32 v4, 16, v33
	v_cvt_pk_bf16_f32 v5, v5, s0
	v_cvt_pk_bf16_f32 v45, v45, s0
	v_fma_f32 v4, v4, v36, v46
	v_lshlrev_b32_e32 v5, 16, v5
	v_cvt_pk_bf16_f32 v33, v4, s0
	v_lshlrev_b32_e32 v4, 16, v45
	v_fma_f32 v5, v5, v36, v46
	v_fmac_f32_e32 v46, v4, v36
	;;#ASMSTART
	v_and_or_b32 v4, v6, v34, v35
	;;#ASMEND
	v_cvt_pk_bf16_f32 v36, v46, s0
	v_and_b32_e32 v46, 0xffff0000, v4
	v_lshlrev_b32_e32 v4, 16, v4
	v_add_f32_e32 v4, 0xc3080000, v4
	v_cvt_pk_bf16_f32 v47, v5, s0
	v_lshrrev_b32_e32 v5, 4, v6
	v_cvt_pk_bf16_f32 v4, v4, s0
	;;#ASMSTART
	v_and_or_b32 v5, v5, v34, v35
	;;#ASMEND
	v_add_f32_e32 v46, 0xc3080000, v46
	v_lshlrev_b32_e32 v4, 16, v4
	s_waitcnt vmcnt(1)
	v_and_b32_e32 v52, 0xffff0000, v37
	v_lshlrev_b32_e32 v37, 16, v37
	v_cvt_pk_bf16_f32 v46, v46, s0
	v_and_b32_e32 v49, 0xffff0000, v5
	v_lshlrev_b32_e32 v5, 16, v5
	v_fma_f32 v4, v4, v37, v52
	v_add_f32_e32 v5, 0xc3080000, v5
	v_cvt_pk_bf16_f32 v53, v4, s0
	v_lshlrev_b32_e32 v4, 16, v46
	v_lshrrev_b32_e32 v45, 8, v6
	v_cvt_pk_bf16_f32 v5, v5, s0
	v_fma_f32 v4, v4, v37, v52
	;;#ASMSTART
	v_and_or_b32 v45, v45, v34, v35
	;;#ASMEND
	v_add_f32_e32 v49, 0xc3080000, v49
	v_cvt_pk_bf16_f32 v46, v4, s0
	v_lshlrev_b32_e32 v4, 16, v5
	v_cvt_pk_bf16_f32 v49, v49, s0
	v_and_b32_e32 v50, 0xffff0000, v45
	v_lshlrev_b32_e32 v45, 16, v45
	v_fma_f32 v4, v4, v37, v52
	v_add_f32_e32 v45, 0xc3080000, v45
	v_cvt_pk_bf16_f32 v54, v4, s0
	v_lshlrev_b32_e32 v4, 16, v49
	v_lshrrev_b32_e32 v6, 12, v6
	v_cvt_pk_bf16_f32 v45, v45, s0
	v_fma_f32 v4, v4, v37, v52
	;;#ASMSTART
	v_and_or_b32 v6, v6, v34, v35
	;;#ASMEND
	v_add_f32_e32 v50, 0xc3080000, v50
	v_cvt_pk_bf16_f32 v49, v4, s0
	v_lshlrev_b32_e32 v4, 16, v45
	v_cvt_pk_bf16_f32 v50, v50, s0
	v_and_b32_e32 v51, 0xffff0000, v6
	v_lshlrev_b32_e32 v6, 16, v6
	v_fma_f32 v4, v4, v37, v52
	v_add_f32_e32 v6, 0xc3080000, v6
	v_cvt_pk_bf16_f32 v45, v4, s0
	v_lshlrev_b32_e32 v4, 16, v50
	v_cvt_pk_bf16_f32 v6, v6, s0
	v_fma_f32 v4, v4, v37, v52
	v_add_f32_e32 v51, 0xc3080000, v51
	v_cvt_pk_bf16_f32 v50, v4, s0
	v_lshlrev_b32_e32 v4, 16, v6
	v_cvt_pk_bf16_f32 v51, v51, s0
	v_fma_f32 v4, v4, v37, v52
	v_cvt_pk_bf16_f32 v55, v4, s0
	v_lshlrev_b32_e32 v4, 16, v51
	v_fmac_f32_e32 v52, v4, v37
	;;#ASMSTART
	v_and_or_b32 v4, v7, v34, v35
	;;#ASMEND
	v_lshrrev_b32_e32 v5, 4, v7
	v_lshrrev_b32_e32 v6, 8, v7
	;; [unrolled: 1-line block ×3, first 2 shown]
	;;#ASMSTART
	v_and_or_b32 v5, v5, v34, v35
	;;#ASMEND
	;;#ASMSTART
	v_and_or_b32 v6, v6, v34, v35
	;;#ASMEND
	;; [unrolled: 3-line block ×3, first 2 shown]
	v_and_b32_e32 v34, 0xffff0000, v4
	v_lshlrev_b32_e32 v4, 16, v4
	v_add_f32_e32 v4, 0xc3080000, v4
	v_cvt_pk_bf16_f32 v4, v4, s0
	v_add_f32_e32 v34, 0xc3080000, v34
	v_lshlrev_b32_e32 v4, 16, v4
	s_waitcnt vmcnt(0)
	v_and_b32_e32 v57, 0xffff0000, v38
	v_lshlrev_b32_e32 v58, 16, v38
	v_cvt_pk_bf16_f32 v34, v34, s0
	v_and_b32_e32 v35, 0xffff0000, v5
	v_lshlrev_b32_e32 v5, 16, v5
	v_fma_f32 v4, v4, v58, v57
	v_add_f32_e32 v5, 0xc3080000, v5
	v_cvt_pk_bf16_f32 v59, v4, s0
	v_lshlrev_b32_e32 v4, 16, v34
	v_cvt_pk_bf16_f32 v5, v5, s0
	v_fma_f32 v4, v4, v58, v57
	v_add_f32_e32 v35, 0xc3080000, v35
	v_cvt_pk_bf16_f32 v60, v4, s0
	v_lshlrev_b32_e32 v4, 16, v5
	v_cvt_pk_bf16_f32 v35, v35, s0
	v_and_b32_e32 v37, 0xffff0000, v6
	v_lshlrev_b32_e32 v6, 16, v6
	v_fma_f32 v4, v4, v58, v57
	v_add_f32_e32 v6, 0xc3080000, v6
	v_cvt_pk_bf16_f32 v61, v4, s0
	v_lshlrev_b32_e32 v4, 16, v35
	v_cvt_pk_bf16_f32 v6, v6, s0
	v_fma_f32 v4, v4, v58, v57
	v_add_f32_e32 v37, 0xc3080000, v37
	v_cvt_pk_bf16_f32 v62, v4, s0
	v_lshlrev_b32_e32 v4, 16, v6
	v_cvt_pk_bf16_f32 v37, v37, s0
	v_fma_f32 v4, v4, v58, v57
	v_cvt_pk_bf16_f32 v24, v24, s0
	v_cvt_pk_bf16_f32 v39, v39, s0
	;; [unrolled: 1-line block ×4, first 2 shown]
	v_and_b32_e32 v52, 0xffff0000, v7
	v_lshlrev_b32_e32 v7, 16, v7
	v_cvt_pk_bf16_f32 v63, v4, s0
	v_lshlrev_b32_e32 v4, 16, v37
	v_cvt_pk_bf16_f32 v26, v26, s0
	v_cvt_pk_bf16_f32 v40, v40, s0
	v_add_f32_e32 v7, 0xc3080000, v7
	v_fma_f32 v34, v4, v58, v57
	v_perm_b32 v4, v39, v24, s2
	v_perm_b32 v5, v31, v25, s2
	v_cvt_pk_bf16_f32 v56, v7, s0
	v_perm_b32 v24, v48, v47, s2
	v_mfma_f32_16x16x16_bf16 v[4:7], v[12:13], v[4:5], 0
	v_perm_b32 v12, v41, v26, s2
	v_perm_b32 v13, v40, v42, s2
	;; [unrolled: 1-line block ×3, first 2 shown]
	v_add_f32_e32 v52, 0xc3080000, v52
	v_cvt_pk_bf16_f32 v31, v34, s0
	v_mfma_f32_16x16x16_bf16 v[10:13], v[10:11], v[12:13], 0
	v_lshlrev_b32_e32 v34, 16, v56
	v_cvt_pk_bf16_f32 v52, v52, s0
	v_fma_f32 v37, v34, v58, v57
	v_mfma_f32_16x16x16_bf16 v[24:27], v[8:9], v[24:25], 0
	v_perm_b32 v8, v44, v32, s2
	v_perm_b32 v9, v36, v33, s2
	v_cvt_pk_bf16_f32 v40, v37, s0
	v_pk_add_f32 v[2:3], v[2:3], v[6:7]
	v_mfma_f32_16x16x16_bf16 v[32:35], v[14:15], v[8:9], 0
	v_perm_b32 v8, v46, v53, s2
	v_perm_b32 v9, v49, v54, s2
	v_lshlrev_b32_e32 v14, 16, v52
	v_fmac_f32_e32 v57, v14, v58
	v_mfma_f32_16x16x16_bf16 v[36:39], v[20:21], v[8:9], 0
	v_perm_b32 v8, v50, v45, s2
	v_perm_b32 v9, v51, v55, s2
	v_pk_add_f32 v[0:1], v[0:1], v[4:5]
	v_pk_add_f32 v[2:3], v[2:3], v[12:13]
	v_mfma_f32_16x16x16_bf16 v[18:21], v[18:19], v[8:9], 0
	v_perm_b32 v8, v60, v59, s2
	v_perm_b32 v9, v62, v61, s2
	v_pk_add_f32 v[0:1], v[0:1], v[10:11]
	v_pk_add_f32 v[2:3], v[2:3], v[26:27]
	v_mfma_f32_16x16x16_bf16 v[14:17], v[16:17], v[8:9], 0
	v_cvt_pk_bf16_f32 v9, v57, s0
	v_perm_b32 v8, v31, v63, s2
	v_perm_b32 v9, v9, v40, s2
	v_pk_add_f32 v[0:1], v[0:1], v[24:25]
	v_pk_add_f32 v[2:3], v[2:3], v[34:35]
	v_mfma_f32_16x16x16_bf16 v[40:43], v[22:23], v[8:9], 0
	v_add_f32_e64 v0, v0, v32
	v_add_f32_e64 v1, v1, v33
	v_pk_add_f32 v[2:3], v[2:3], v[38:39]
	v_pk_add_f32 v[0:1], v[0:1], v[36:37]
	;; [unrolled: 1-line block ×8, first 2 shown]
.LBB2_22:
	s_or_b64 exec, exec, s[0:1]
	v_lshlrev_b32_e32 v27, 4, v28
	v_lshl_add_u32 v4, v30, 10, v27
	v_cmp_eq_u32_e32 vcc, 0, v30
	ds_write_b128 v4, v[0:3]
	s_waitcnt lgkmcnt(0)
	s_barrier
	s_and_saveexec_b64 s[0:1], vcc
	s_cbranch_execz .LBB2_31
; %bb.23:
	v_add_u32_e32 v6, 12, v27
	v_add_u32_e32 v4, 0x404, v27
	;; [unrolled: 1-line block ×7, first 2 shown]
	ds_read2st64_b32 v[0:1], v6 offset1:4
	ds_read2st64_b32 v[2:3], v6 offset0:8 offset1:12
	ds_read2_b32 v[10:11], v27 offset0:1 offset1:2
	ds_read2_b32 v[12:13], v4 offset1:1
	ds_read2_b32 v[14:15], v5 offset1:1
	;; [unrolled: 1-line block ×3, first 2 shown]
	ds_read2st64_b32 v[4:5], v6 offset0:16 offset1:20
	v_add_u32_e32 v9, 0x1404, v27
	ds_read2st64_b32 v[6:7], v6 offset0:24 offset1:28
	ds_read2_b32 v[18:19], v8 offset1:1
	ds_read2_b32 v[20:21], v9 offset1:1
	;; [unrolled: 1-line block ×4, first 2 shown]
	v_and_b32_e32 v8, 0xfc, v29
	v_lshl_add_u32 v26, s4, 4, v8
	s_lshl_b32 s0, s3, 4
	v_and_or_b32 v8, v28, 15, s0
	v_mul_lo_u32 v28, s13, v26
	v_ashrrev_i32_e32 v29, 31, v28
	v_lshl_add_u64 v[28:29], v[28:29], 1, s[10:11]
	v_ashrrev_i32_e32 v9, 31, v8
	v_lshl_add_u64 v[8:9], v[8:9], 1, v[28:29]
	v_cmp_gt_i32_e32 vcc, s12, v26
	s_and_saveexec_b64 s[0:1], vcc
	s_cbranch_execz .LBB2_25
; %bb.24:
	ds_read2st64_b32 v[28:29], v27 offset1:4
	ds_read2st64_b32 v[30:31], v27 offset0:8 offset1:12
	ds_read2st64_b32 v[32:33], v27 offset0:16 offset1:20
	s_waitcnt lgkmcnt(2)
	v_add_f32_e32 v28, 0, v28
	v_add_f32_e32 v34, v28, v29
	ds_read2st64_b32 v[28:29], v27 offset0:24 offset1:28
	s_waitcnt lgkmcnt(2)
	v_add_f32_e32 v27, v34, v30
	v_add_f32_e32 v27, v27, v31
	s_waitcnt lgkmcnt(1)
	v_add_f32_e32 v27, v27, v32
	v_add_f32_e32 v27, v27, v33
	;; [unrolled: 3-line block ×3, first 2 shown]
	v_cvt_pk_bf16_f32 v27, v27, s0
	global_store_short v[8:9], v27, off
.LBB2_25:
	s_or_b64 exec, exec, s[0:1]
	v_or_b32_e32 v27, 1, v26
	v_cmp_gt_i32_e32 vcc, s12, v27
	s_and_saveexec_b64 s[0:1], vcc
	s_cbranch_execz .LBB2_27
; %bb.26:
	s_waitcnt lgkmcnt(9)
	v_add_f32_e32 v10, 0, v10
	s_waitcnt lgkmcnt(8)
	v_add_f32_e32 v10, v10, v12
	;; [unrolled: 2-line block ×8, first 2 shown]
	s_ashr_i32 s3, s13, 31
	s_mov_b32 s2, s13
	v_cvt_pk_bf16_f32 v10, v10, s0
	v_lshl_add_u64 v[28:29], s[2:3], 1, v[8:9]
	global_store_short v[28:29], v10, off
.LBB2_27:
	s_or_b64 exec, exec, s[0:1]
	s_waitcnt lgkmcnt(9)
	v_or_b32_e32 v10, 2, v26
	v_cmp_gt_i32_e32 vcc, s12, v10
	s_and_saveexec_b64 s[0:1], vcc
	s_cbranch_execz .LBB2_29
; %bb.28:
	v_add_f32_e32 v10, 0, v11
	s_waitcnt lgkmcnt(8)
	v_add_f32_e32 v10, v10, v13
	s_waitcnt lgkmcnt(7)
	;; [unrolled: 2-line block ×6, first 2 shown]
	v_add_f32_e32 v10, v10, v23
	s_lshl_b32 s2, s13, 1
	s_waitcnt lgkmcnt(0)
	v_add_f32_e32 v10, v10, v25
	s_ashr_i32 s3, s2, 31
	v_cvt_pk_bf16_f32 v12, v10, s0
	v_lshl_add_u64 v[10:11], s[2:3], 1, v[8:9]
	global_store_short v[10:11], v12, off
.LBB2_29:
	s_or_b64 exec, exec, s[0:1]
	v_or_b32_e32 v10, 3, v26
	v_cmp_gt_i32_e32 vcc, s12, v10
	s_and_b64 exec, exec, vcc
	s_cbranch_execz .LBB2_31
; %bb.30:
	v_add_f32_e32 v0, 0, v0
	v_add_f32_e32 v0, v0, v1
	;; [unrolled: 1-line block ×4, first 2 shown]
	s_waitcnt lgkmcnt(5)
	v_add_f32_e32 v0, v0, v4
	v_add_f32_e32 v0, v0, v5
	s_waitcnt lgkmcnt(4)
	v_add_f32_e32 v0, v0, v6
	v_add_f32_e32 v0, v0, v7
	v_cvt_pk_bf16_f32 v2, v0, s0
	s_mul_i32 s0, s13, 3
	s_ashr_i32 s1, s0, 31
	v_lshl_add_u64 v[0:1], s[0:1], 1, v[8:9]
	global_store_short v[0:1], v2, off
.LBB2_31:
	s_endpgm
	.section	.rodata,"a",@progbits
	.p2align	6, 0x0
	.amdhsa_kernel _ZN2at6native30tinygemm_m16n8k16_chunk_kernelINS0_10ALayout_RMILNS0_14KReductionTypeE0EEENS0_15BLayout_TC_int4ILi8ELi32EEES4_Li8ELi8EEEvPKvS8_S8_Pviiiiii
		.amdhsa_group_segment_fixed_size 8192
		.amdhsa_private_segment_fixed_size 0
		.amdhsa_kernarg_size 56
		.amdhsa_user_sgpr_count 2
		.amdhsa_user_sgpr_dispatch_ptr 0
		.amdhsa_user_sgpr_queue_ptr 0
		.amdhsa_user_sgpr_kernarg_segment_ptr 1
		.amdhsa_user_sgpr_dispatch_id 0
		.amdhsa_user_sgpr_kernarg_preload_length 0
		.amdhsa_user_sgpr_kernarg_preload_offset 0
		.amdhsa_user_sgpr_private_segment_size 0
		.amdhsa_uses_dynamic_stack 0
		.amdhsa_enable_private_segment 0
		.amdhsa_system_sgpr_workgroup_id_x 1
		.amdhsa_system_sgpr_workgroup_id_y 1
		.amdhsa_system_sgpr_workgroup_id_z 1
		.amdhsa_system_sgpr_workgroup_info 0
		.amdhsa_system_vgpr_workitem_id 1
		.amdhsa_next_free_vgpr 66
		.amdhsa_next_free_sgpr 31
		.amdhsa_accum_offset 68
		.amdhsa_reserve_vcc 1
		.amdhsa_float_round_mode_32 0
		.amdhsa_float_round_mode_16_64 0
		.amdhsa_float_denorm_mode_32 3
		.amdhsa_float_denorm_mode_16_64 3
		.amdhsa_dx10_clamp 1
		.amdhsa_ieee_mode 1
		.amdhsa_fp16_overflow 0
		.amdhsa_tg_split 0
		.amdhsa_exception_fp_ieee_invalid_op 0
		.amdhsa_exception_fp_denorm_src 0
		.amdhsa_exception_fp_ieee_div_zero 0
		.amdhsa_exception_fp_ieee_overflow 0
		.amdhsa_exception_fp_ieee_underflow 0
		.amdhsa_exception_fp_ieee_inexact 0
		.amdhsa_exception_int_div_zero 0
	.end_amdhsa_kernel
	.section	.text._ZN2at6native30tinygemm_m16n8k16_chunk_kernelINS0_10ALayout_RMILNS0_14KReductionTypeE0EEENS0_15BLayout_TC_int4ILi8ELi32EEES4_Li8ELi8EEEvPKvS8_S8_Pviiiiii,"axG",@progbits,_ZN2at6native30tinygemm_m16n8k16_chunk_kernelINS0_10ALayout_RMILNS0_14KReductionTypeE0EEENS0_15BLayout_TC_int4ILi8ELi32EEES4_Li8ELi8EEEvPKvS8_S8_Pviiiiii,comdat
.Lfunc_end2:
	.size	_ZN2at6native30tinygemm_m16n8k16_chunk_kernelINS0_10ALayout_RMILNS0_14KReductionTypeE0EEENS0_15BLayout_TC_int4ILi8ELi32EEES4_Li8ELi8EEEvPKvS8_S8_Pviiiiii, .Lfunc_end2-_ZN2at6native30tinygemm_m16n8k16_chunk_kernelINS0_10ALayout_RMILNS0_14KReductionTypeE0EEENS0_15BLayout_TC_int4ILi8ELi32EEES4_Li8ELi8EEEvPKvS8_S8_Pviiiiii
                                        ; -- End function
	.set _ZN2at6native30tinygemm_m16n8k16_chunk_kernelINS0_10ALayout_RMILNS0_14KReductionTypeE0EEENS0_15BLayout_TC_int4ILi8ELi32EEES4_Li8ELi8EEEvPKvS8_S8_Pviiiiii.num_vgpr, 66
	.set _ZN2at6native30tinygemm_m16n8k16_chunk_kernelINS0_10ALayout_RMILNS0_14KReductionTypeE0EEENS0_15BLayout_TC_int4ILi8ELi32EEES4_Li8ELi8EEEvPKvS8_S8_Pviiiiii.num_agpr, 0
	.set _ZN2at6native30tinygemm_m16n8k16_chunk_kernelINS0_10ALayout_RMILNS0_14KReductionTypeE0EEENS0_15BLayout_TC_int4ILi8ELi32EEES4_Li8ELi8EEEvPKvS8_S8_Pviiiiii.numbered_sgpr, 31
	.set _ZN2at6native30tinygemm_m16n8k16_chunk_kernelINS0_10ALayout_RMILNS0_14KReductionTypeE0EEENS0_15BLayout_TC_int4ILi8ELi32EEES4_Li8ELi8EEEvPKvS8_S8_Pviiiiii.num_named_barrier, 0
	.set _ZN2at6native30tinygemm_m16n8k16_chunk_kernelINS0_10ALayout_RMILNS0_14KReductionTypeE0EEENS0_15BLayout_TC_int4ILi8ELi32EEES4_Li8ELi8EEEvPKvS8_S8_Pviiiiii.private_seg_size, 0
	.set _ZN2at6native30tinygemm_m16n8k16_chunk_kernelINS0_10ALayout_RMILNS0_14KReductionTypeE0EEENS0_15BLayout_TC_int4ILi8ELi32EEES4_Li8ELi8EEEvPKvS8_S8_Pviiiiii.uses_vcc, 1
	.set _ZN2at6native30tinygemm_m16n8k16_chunk_kernelINS0_10ALayout_RMILNS0_14KReductionTypeE0EEENS0_15BLayout_TC_int4ILi8ELi32EEES4_Li8ELi8EEEvPKvS8_S8_Pviiiiii.uses_flat_scratch, 0
	.set _ZN2at6native30tinygemm_m16n8k16_chunk_kernelINS0_10ALayout_RMILNS0_14KReductionTypeE0EEENS0_15BLayout_TC_int4ILi8ELi32EEES4_Li8ELi8EEEvPKvS8_S8_Pviiiiii.has_dyn_sized_stack, 0
	.set _ZN2at6native30tinygemm_m16n8k16_chunk_kernelINS0_10ALayout_RMILNS0_14KReductionTypeE0EEENS0_15BLayout_TC_int4ILi8ELi32EEES4_Li8ELi8EEEvPKvS8_S8_Pviiiiii.has_recursion, 0
	.set _ZN2at6native30tinygemm_m16n8k16_chunk_kernelINS0_10ALayout_RMILNS0_14KReductionTypeE0EEENS0_15BLayout_TC_int4ILi8ELi32EEES4_Li8ELi8EEEvPKvS8_S8_Pviiiiii.has_indirect_call, 0
	.section	.AMDGPU.csdata,"",@progbits
; Kernel info:
; codeLenInByte = 5800
; TotalNumSgprs: 37
; NumVgprs: 66
; NumAgprs: 0
; TotalNumVgprs: 66
; ScratchSize: 0
; MemoryBound: 0
; FloatMode: 240
; IeeeMode: 1
; LDSByteSize: 8192 bytes/workgroup (compile time only)
; SGPRBlocks: 4
; VGPRBlocks: 8
; NumSGPRsForWavesPerEU: 37
; NumVGPRsForWavesPerEU: 66
; AccumOffset: 68
; Occupancy: 7
; WaveLimiterHint : 0
; COMPUTE_PGM_RSRC2:SCRATCH_EN: 0
; COMPUTE_PGM_RSRC2:USER_SGPR: 2
; COMPUTE_PGM_RSRC2:TRAP_HANDLER: 0
; COMPUTE_PGM_RSRC2:TGID_X_EN: 1
; COMPUTE_PGM_RSRC2:TGID_Y_EN: 1
; COMPUTE_PGM_RSRC2:TGID_Z_EN: 1
; COMPUTE_PGM_RSRC2:TIDIG_COMP_CNT: 1
; COMPUTE_PGM_RSRC3_GFX90A:ACCUM_OFFSET: 16
; COMPUTE_PGM_RSRC3_GFX90A:TG_SPLIT: 0
	.section	.text._ZN2at6native30tinygemm_m16n8k16_chunk_kernelINS0_10ALayout_RMILNS0_14KReductionTypeE0EEENS0_15BLayout_TC_int4ILi2ELi64EEES4_Li8ELi8EEEvPKvS8_S8_Pviiiiii,"axG",@progbits,_ZN2at6native30tinygemm_m16n8k16_chunk_kernelINS0_10ALayout_RMILNS0_14KReductionTypeE0EEENS0_15BLayout_TC_int4ILi2ELi64EEES4_Li8ELi8EEEvPKvS8_S8_Pviiiiii,comdat
	.protected	_ZN2at6native30tinygemm_m16n8k16_chunk_kernelINS0_10ALayout_RMILNS0_14KReductionTypeE0EEENS0_15BLayout_TC_int4ILi2ELi64EEES4_Li8ELi8EEEvPKvS8_S8_Pviiiiii ; -- Begin function _ZN2at6native30tinygemm_m16n8k16_chunk_kernelINS0_10ALayout_RMILNS0_14KReductionTypeE0EEENS0_15BLayout_TC_int4ILi2ELi64EEES4_Li8ELi8EEEvPKvS8_S8_Pviiiiii
	.globl	_ZN2at6native30tinygemm_m16n8k16_chunk_kernelINS0_10ALayout_RMILNS0_14KReductionTypeE0EEENS0_15BLayout_TC_int4ILi2ELi64EEES4_Li8ELi8EEEvPKvS8_S8_Pviiiiii
	.p2align	8
	.type	_ZN2at6native30tinygemm_m16n8k16_chunk_kernelINS0_10ALayout_RMILNS0_14KReductionTypeE0EEENS0_15BLayout_TC_int4ILi2ELi64EEES4_Li8ELi8EEEvPKvS8_S8_Pviiiiii,@function
_ZN2at6native30tinygemm_m16n8k16_chunk_kernelINS0_10ALayout_RMILNS0_14KReductionTypeE0EEENS0_15BLayout_TC_int4ILi2ELi64EEES4_Li8ELi8EEEvPKvS8_S8_Pviiiiii: ; @_ZN2at6native30tinygemm_m16n8k16_chunk_kernelINS0_10ALayout_RMILNS0_14KReductionTypeE0EEENS0_15BLayout_TC_int4ILi2ELi64EEES4_Li8ELi8EEEvPKvS8_S8_Pviiiiii
; %bb.0:
	s_load_dwordx2 s[6:7], s[0:1], 0x30
	s_load_dwordx4 s[16:19], s[0:1], 0x0
	s_load_dwordx8 s[8:15], s[0:1], 0x10
	v_bfe_u32 v28, v0, 10, 10
	v_and_b32_e32 v26, 0x3ff, v0
	s_waitcnt lgkmcnt(0)
	s_ashr_i32 s0, s7, 31
	s_lshr_b32 s0, s0, 29
	s_add_i32 s0, s7, s0
	v_lshlrev_b32_e32 v0, 3, v28
	s_and_b32 s5, s0, -8
	v_lshl_add_u32 v30, s2, 6, v0
	v_mov_b32_e32 v0, 0
	v_cmp_gt_i32_e32 vcc, s5, v30
	v_mov_b32_e32 v1, v0
	v_mov_b32_e32 v2, v0
	;; [unrolled: 1-line block ×3, first 2 shown]
	v_and_b32_e32 v29, 15, v26
	v_lshrrev_b32_e32 v27, 2, v26
	s_and_saveexec_b64 s[20:21], vcc
	s_cbranch_execz .LBB3_12
; %bb.1:
	v_lshl_or_b32 v1, s4, 4, v29
	s_lshr_b32 s0, s7, 31
	v_mul_lo_u32 v2, s14, v1
	s_add_i32 s0, s7, s0
	v_and_b32_e32 v6, 0xfc, v27
	v_ashrrev_i32_e32 v3, 31, v2
	v_cmp_gt_i32_e32 vcc, s12, v1
	s_ashr_i32 s15, s0, 1
	s_lshl_b32 s22, s6, 5
	s_lshl_b32 s0, s2, 10
	v_lshlrev_b32_e32 v1, 7, v28
	v_lshl_add_u64 v[4:5], v[2:3], 1, s[16:17]
	s_mul_i32 s15, s15, s3
	v_lshl_or_b32 v31, s3, 4, v29
	s_lshl_b32 s26, s6, 4
	s_ashr_i32 s23, s22, 31
	v_add3_u32 v6, s0, v1, v6
	s_mov_b64 s[24:25], 0
	v_mov_b32_e32 v32, 0xf000f
	v_mov_b32_e32 v33, 0x43004300
	s_mov_b32 s2, 0x5040100
	v_mov_b32_e32 v1, v0
	v_mov_b32_e32 v2, v0
	;; [unrolled: 1-line block ×3, first 2 shown]
	s_branch .LBB3_3
.LBB3_2:                                ;   in Loop: Header=BB3_3 Depth=1
	s_or_b64 exec, exec, s[0:1]
	v_lshrrev_b32_e32 v7, 1, v30
	v_add_u32_e32 v7, s15, v7
	v_lshl_add_u32 v24, v7, 6, v26
	v_ashrrev_i32_e32 v25, 31, v24
	v_lshl_add_u64 v[24:25], v[24:25], 2, s[18:19]
	global_load_dword v7, v[24:25], off
	v_ashrrev_i32_e32 v34, 2, v30
	v_mul_lo_u32 v34, s26, v34
	v_add_lshl_u32 v34, v31, v34, 1
	v_ashrrev_i32_e32 v35, 31, v34
	v_lshl_add_u64 v[34:35], v[34:35], 1, s[8:9]
	global_load_dword v36, v[34:35], off
	global_load_dword v37, v[24:25], off offset:256
	global_load_dword v38, v[24:25], off offset:512
	;; [unrolled: 1-line block ×3, first 2 shown]
	v_lshl_add_u64 v[24:25], s[22:23], 1, v[34:35]
	global_load_dword v34, v[24:25], off
	v_add_u32_e32 v30, 64, v30
	v_add_u32_e32 v6, 0x400, v6
	s_waitcnt vmcnt(5)
	v_lshrrev_b32_e32 v24, 4, v7
	v_lshrrev_b32_e32 v25, 8, v7
	;; [unrolled: 1-line block ×3, first 2 shown]
	;;#ASMSTART
	v_and_or_b32 v7, v7, v32, v33
	;;#ASMEND
	;;#ASMSTART
	v_and_or_b32 v24, v24, v32, v33
	;;#ASMEND
	;; [unrolled: 3-line block ×3, first 2 shown]
	s_waitcnt vmcnt(4)
	v_and_b32_e32 v39, 0xffff0000, v36
	v_and_b32_e32 v45, 0xffff0000, v24
	v_lshlrev_b32_e32 v24, 16, v24
	v_add_f32_e32 v24, 0xc3080000, v24
	v_and_b32_e32 v46, 0xffff0000, v25
	v_lshlrev_b32_e32 v25, 16, v25
	v_cvt_pk_bf16_f32 v24, v24, s0
	v_lshlrev_b32_e32 v36, 16, v36
	v_add_f32_e32 v25, 0xc3080000, v25
	v_lshlrev_b32_e32 v24, 16, v24
	s_waitcnt vmcnt(3)
	v_lshrrev_b32_e32 v41, 4, v37
	v_lshrrev_b32_e32 v42, 8, v37
	v_cvt_pk_bf16_f32 v25, v25, s0
	v_fma_f32 v24, v24, v36, v39
	v_lshrrev_b32_e32 v43, 12, v37
	;;#ASMSTART
	v_and_or_b32 v35, v35, v32, v33
	;;#ASMEND
	;;#ASMSTART
	v_and_or_b32 v37, v37, v32, v33
	;;#ASMEND
	;; [unrolled: 3-line block ×4, first 2 shown]
	v_lshlrev_b32_e32 v25, 16, v25
	v_cvt_pk_bf16_f32 v50, v24, s0
	v_and_b32_e32 v24, 0xffff0000, v42
	;;#ASMSTART
	v_and_or_b32 v43, v43, v32, v33
	;;#ASMEND
	v_fma_f32 v25, v25, v36, v39
	v_add_f32_e32 v24, 0xc3080000, v24
	v_cvt_pk_bf16_f32 v51, v25, s0
	v_cvt_pk_bf16_f32 v24, v24, s0
	v_lshlrev_b32_e32 v25, 16, v42
	v_and_b32_e32 v42, 0xffff0000, v43
	v_lshlrev_b32_e32 v43, 16, v43
	v_add_f32_e32 v43, 0xc3080000, v43
	v_lshlrev_b32_e32 v24, 16, v24
	v_and_b32_e32 v44, 0xffff0000, v7
	v_lshlrev_b32_e32 v7, 16, v7
	v_and_b32_e32 v47, 0xffff0000, v35
	;; [unrolled: 2-line block ×4, first 2 shown]
	v_lshlrev_b32_e32 v41, 16, v41
	v_cvt_pk_bf16_f32 v43, v43, s0
	v_fma_f32 v24, v24, v36, v39
	v_add_f32_e32 v44, 0xc3080000, v44
	v_add_f32_e32 v7, 0xc3080000, v7
	;; [unrolled: 1-line block ×12, first 2 shown]
	v_cvt_pk_bf16_f32 v53, v24, s0
	v_lshlrev_b32_e32 v24, 16, v43
	v_cvt_pk_bf16_f32 v44, v44, s0
	v_cvt_pk_bf16_f32 v7, v7, s0
	;; [unrolled: 1-line block ×12, first 2 shown]
	v_fma_f32 v24, v24, v36, v39
	v_lshlrev_b32_e32 v7, 16, v7
	v_lshlrev_b32_e32 v44, 16, v44
	;; [unrolled: 1-line block ×11, first 2 shown]
	v_cvt_pk_bf16_f32 v43, v24, s0
	v_lshlrev_b32_e32 v24, 16, v42
	v_fma_f32 v7, v7, v36, v39
	v_fma_f32 v44, v44, v36, v39
	;; [unrolled: 1-line block ×11, first 2 shown]
	v_fmac_f32_e32 v39, v24, v36
	s_waitcnt vmcnt(2)
	v_lshrrev_b32_e32 v24, 4, v38
	v_cvt_pk_bf16_f32 v52, v25, s0
	v_cvt_pk_bf16_f32 v36, v39, s0
	v_lshrrev_b32_e32 v25, 8, v38
	v_lshrrev_b32_e32 v39, 12, v38
	;;#ASMSTART
	v_and_or_b32 v38, v38, v32, v33
	;;#ASMEND
	;;#ASMSTART
	v_and_or_b32 v24, v24, v32, v33
	;;#ASMEND
	;; [unrolled: 3-line block ×4, first 2 shown]
	v_cvt_pk_bf16_f32 v7, v7, s0
	v_and_b32_e32 v54, 0xffff0000, v24
	v_lshlrev_b32_e32 v24, 16, v24
	v_add_f32_e32 v24, 0xc3080000, v24
	v_cvt_pk_bf16_f32 v55, v24, s0
	v_and_b32_e32 v24, 0xffff0000, v25
	v_add_f32_e32 v24, 0xc3080000, v24
	v_cvt_pk_bf16_f32 v56, v24, s0
	v_lshlrev_b32_e32 v24, 16, v25
	v_add_f32_e32 v24, 0xc3080000, v24
	v_cvt_pk_bf16_f32 v57, v24, s0
	v_and_b32_e32 v24, 0xffff0000, v39
	v_and_b32_e32 v42, 0xffff0000, v38
	v_lshlrev_b32_e32 v38, 16, v38
	v_add_f32_e32 v24, 0xc3080000, v24
	v_add_f32_e32 v38, 0xc3080000, v38
	v_cvt_pk_bf16_f32 v58, v24, s0
	v_lshlrev_b32_e32 v24, 16, v39
	v_cvt_pk_bf16_f32 v44, v44, s0
	v_cvt_pk_bf16_f32 v45, v45, s0
	;; [unrolled: 1-line block ×3, first 2 shown]
	v_add_f32_e32 v24, 0xc3080000, v24
	v_add_f32_e32 v42, 0xc3080000, v42
	v_cvt_pk_bf16_f32 v39, v24, s0
	v_lshlrev_b32_e32 v38, 16, v38
	v_perm_b32 v24, v44, v7, s2
	v_perm_b32 v25, v45, v50, s2
	s_waitcnt vmcnt(0)
	v_and_b32_e32 v7, 0xffff0000, v34
	v_lshlrev_b32_e32 v50, 16, v34
	v_cvt_pk_bf16_f32 v42, v42, s0
	v_fma_f32 v34, v38, v50, v7
	v_cvt_pk_bf16_f32 v59, v34, s0
	v_lshlrev_b32_e32 v34, 16, v42
	v_fma_f32 v34, v34, v50, v7
	v_add_f32_e32 v54, 0xc3080000, v54
	v_cvt_pk_bf16_f32 v60, v34, s0
	v_lshlrev_b32_e32 v34, 16, v55
	v_cvt_pk_bf16_f32 v54, v54, s0
	v_fma_f32 v34, v34, v50, v7
	v_cvt_pk_bf16_f32 v55, v34, s0
	v_lshlrev_b32_e32 v34, 16, v54
	v_fma_f32 v34, v34, v50, v7
	v_cvt_pk_bf16_f32 v54, v34, s0
	v_lshlrev_b32_e32 v34, 16, v57
	;; [unrolled: 3-line block ×5, first 2 shown]
	v_cvt_pk_bf16_f32 v35, v35, s0
	v_cvt_pk_bf16_f32 v47, v47, s0
	v_fma_f32 v34, v34, v50, v7
	v_cvt_pk_bf16_f32 v58, v34, s0
	v_lshrrev_b32_e32 v34, 4, v40
	v_perm_b32 v39, v47, v35, s2
	v_lshrrev_b32_e32 v35, 8, v40
	;;#ASMSTART
	v_and_or_b32 v44, v40, v32, v33
	;;#ASMEND
	;;#ASMSTART
	v_and_or_b32 v34, v34, v32, v33
	;;#ASMEND
	;; [unrolled: 3-line block ×3, first 2 shown]
	v_perm_b32 v43, v36, v43, s2
	v_and_b32_e32 v36, 0xffff0000, v35
	v_lshlrev_b32_e32 v35, 16, v35
	v_cvt_pk_bf16_f32 v37, v37, s0
	v_cvt_pk_bf16_f32 v48, v48, s0
	v_lshrrev_b32_e32 v42, 12, v40
	v_add_f32_e32 v35, 0xc3080000, v35
	;;#ASMSTART
	v_and_or_b32 v45, v42, v32, v33
	;;#ASMEND
	v_perm_b32 v40, v48, v37, s2
	v_lshlrev_b32_e32 v42, 16, v44
	v_cvt_pk_bf16_f32 v48, v35, s0
	v_and_b32_e32 v35, 0xffff0000, v45
	v_cvt_pk_bf16_f32 v46, v46, s0
	v_add_f32_e32 v42, 0xc3080000, v42
	v_add_f32_e32 v35, 0xc3080000, v35
	v_perm_b32 v38, v46, v51, s2
	v_and_b32_e32 v37, 0xffff0000, v44
	v_cvt_pk_bf16_f32 v44, v42, s0
	v_and_b32_e32 v42, 0xffff0000, v34
	v_lshlrev_b32_e32 v34, 16, v34
	v_cvt_pk_bf16_f32 v51, v35, s0
	v_lshlrev_b32_e32 v35, 16, v45
	v_add_f32_e32 v34, 0xc3080000, v34
	v_add_f32_e32 v35, 0xc3080000, v35
	;; [unrolled: 1-line block ×3, first 2 shown]
	v_cvt_pk_bf16_f32 v34, v34, s0
	v_cvt_pk_bf16_f32 v45, v35, s0
	v_lshlrev_b32_e32 v35, 16, v44
	v_cvt_pk_bf16_f32 v37, v37, s0
	v_add_f32_e32 v42, 0xc3080000, v42
	v_fma_f32 v35, v35, v50, v7
	v_lshlrev_b32_e32 v34, 16, v34
	v_cvt_pk_bf16_f32 v46, v42, s0
	v_perm_b32 v42, v53, v52, s2
	v_cvt_pk_bf16_f32 v52, v35, s0
	v_lshlrev_b32_e32 v35, 16, v37
	v_fma_f32 v34, v34, v50, v7
	v_add_f32_e32 v36, 0xc3080000, v36
	v_fma_f32 v35, v35, v50, v7
	v_cvt_pk_bf16_f32 v62, v34, s0
	v_lshlrev_b32_e32 v34, 16, v46
	v_cvt_pk_bf16_f32 v41, v41, s0
	v_cvt_pk_bf16_f32 v49, v49, s0
	;; [unrolled: 1-line block ×4, first 2 shown]
	v_fma_f32 v44, v34, v50, v7
	v_mfma_f32_16x16x16_bf16 v[34:37], v[12:13], v[24:25], 0
	v_lshlrev_b32_e32 v12, 16, v48
	v_perm_b32 v41, v49, v41, s2
	v_fma_f32 v25, v12, v50, v7
	v_mfma_f32_16x16x16_bf16 v[10:13], v[10:11], v[38:39], 0
	v_lshlrev_b32_e32 v38, 16, v47
	v_cvt_pk_bf16_f32 v24, v44, s0
	v_fma_f32 v44, v38, v50, v7
	v_mfma_f32_16x16x16_bf16 v[38:41], v[8:9], v[40:41], 0
	v_lshlrev_b32_e32 v8, 16, v45
	v_fma_f32 v8, v8, v50, v7
	v_cvt_pk_bf16_f32 v63, v44, s0
	v_mfma_f32_16x16x16_bf16 v[42:45], v[14:15], v[42:43], 0
	v_cvt_pk_bf16_f32 v64, v8, s0
	v_perm_b32 v8, v60, v59, s2
	v_perm_b32 v9, v54, v55, s2
	v_lshlrev_b32_e32 v14, 16, v51
	v_fmac_f32_e32 v7, v14, v50
	v_mfma_f32_16x16x16_bf16 v[46:49], v[20:21], v[8:9], 0
	v_perm_b32 v8, v56, v57, s2
	v_perm_b32 v9, v58, v61, s2
	v_pk_add_f32 v[2:3], v[2:3], v[36:37]
	v_pk_add_f32 v[0:1], v[0:1], v[34:35]
	v_cvt_pk_bf16_f32 v25, v25, s0
	v_mfma_f32_16x16x16_bf16 v[18:21], v[18:19], v[8:9], 0
	v_perm_b32 v8, v53, v52, s2
	v_perm_b32 v9, v24, v62, s2
	v_cvt_pk_bf16_f32 v7, v7, s0
	v_pk_add_f32 v[2:3], v[2:3], v[12:13]
	v_pk_add_f32 v[0:1], v[0:1], v[10:11]
	v_mfma_f32_16x16x16_bf16 v[14:17], v[16:17], v[8:9], 0
	v_perm_b32 v8, v63, v25, s2
	v_perm_b32 v9, v7, v64, s2
	v_pk_add_f32 v[2:3], v[2:3], v[40:41]
	v_pk_add_f32 v[0:1], v[0:1], v[38:39]
	v_mfma_f32_16x16x16_bf16 v[22:25], v[22:23], v[8:9], 0
	v_add_f32_e64 v2, v2, v44
	v_add_f32_e64 v3, v3, v45
	v_pk_add_f32 v[0:1], v[0:1], v[42:43]
	v_pk_add_f32 v[2:3], v[2:3], v[48:49]
	v_pk_add_f32 v[0:1], v[0:1], v[46:47]
	v_pk_add_f32 v[2:3], v[2:3], v[20:21]
	v_pk_add_f32 v[0:1], v[0:1], v[18:19]
	v_pk_add_f32 v[2:3], v[2:3], v[16:17]
	v_pk_add_f32 v[0:1], v[0:1], v[14:15]
	v_cmp_le_i32_e64 s[0:1], s5, v30
	v_pk_add_f32 v[2:3], v[2:3], v[24:25]
	v_pk_add_f32 v[0:1], v[0:1], v[22:23]
	s_or_b64 s[24:25], s[0:1], s[24:25]
	s_andn2_b64 exec, exec, s[24:25]
	s_cbranch_execz .LBB3_11
.LBB3_3:                                ; =>This Inner Loop Header: Depth=1
	v_ashrrev_i32_e32 v7, 31, v6
	v_lshl_add_u64 v[24:25], v[6:7], 1, v[4:5]
	v_mov_b32_e32 v8, 0
	v_mov_b32_e32 v12, 0
	;; [unrolled: 1-line block ×5, first 2 shown]
	s_and_saveexec_b64 s[0:1], vcc
	s_cbranch_execz .LBB3_5
; %bb.4:                                ;   in Loop: Header=BB3_3 Depth=1
	global_load_dwordx2 v[12:13], v[24:25], off
	global_load_dwordx2 v[10:11], v[24:25], off offset:32
.LBB3_5:                                ;   in Loop: Header=BB3_3 Depth=1
	s_or_b64 exec, exec, s[0:1]
	v_mov_b32_e32 v9, 0
	v_mov_b32_e32 v14, 0
	;; [unrolled: 1-line block ×3, first 2 shown]
	s_and_saveexec_b64 s[0:1], vcc
	s_cbranch_execz .LBB3_7
; %bb.6:                                ;   in Loop: Header=BB3_3 Depth=1
	global_load_dwordx2 v[8:9], v[24:25], off offset:64
	global_load_dwordx2 v[14:15], v[24:25], off offset:96
.LBB3_7:                                ;   in Loop: Header=BB3_3 Depth=1
	s_or_b64 exec, exec, s[0:1]
	v_mov_b32_e32 v16, 0
	v_mov_b32_e32 v20, 0
	;; [unrolled: 1-line block ×5, first 2 shown]
	s_and_saveexec_b64 s[0:1], vcc
	s_cbranch_execz .LBB3_9
; %bb.8:                                ;   in Loop: Header=BB3_3 Depth=1
	global_load_dwordx2 v[20:21], v[24:25], off offset:128
	global_load_dwordx2 v[18:19], v[24:25], off offset:160
.LBB3_9:                                ;   in Loop: Header=BB3_3 Depth=1
	s_or_b64 exec, exec, s[0:1]
	v_mov_b32_e32 v17, 0
	v_mov_b32_e32 v22, 0
	;; [unrolled: 1-line block ×3, first 2 shown]
	s_and_saveexec_b64 s[0:1], vcc
	s_cbranch_execz .LBB3_2
; %bb.10:                               ;   in Loop: Header=BB3_3 Depth=1
	global_load_dwordx2 v[16:17], v[24:25], off offset:192
	global_load_dwordx2 v[22:23], v[24:25], off offset:224
	s_branch .LBB3_2
.LBB3_11:
	s_or_b64 exec, exec, s[24:25]
.LBB3_12:
	s_or_b64 exec, exec, s[20:21]
	v_lshl_add_u32 v8, v28, 1, s5
	v_cmp_gt_u32_e32 vcc, s7, v8
	s_and_saveexec_b64 s[0:1], vcc
	s_cbranch_execz .LBB3_16
; %bb.13:
	v_lshl_or_b32 v9, s4, 4, v29
	v_cmp_gt_i32_e32 vcc, s12, v9
	v_mov_b32_e32 v6, 0
	v_mov_b32_e32 v7, 0
	;; [unrolled: 1-line block ×4, first 2 shown]
	s_and_saveexec_b64 s[20:21], vcc
	s_cbranch_execz .LBB3_15
; %bb.14:
	v_mul_lo_u32 v4, s14, v9
	v_and_b32_e32 v6, 0xfc, v27
	v_ashrrev_i32_e32 v5, 31, v4
	v_lshl_add_u32 v6, v8, 4, v6
	v_lshl_add_u64 v[4:5], v[4:5], 1, s[16:17]
	v_ashrrev_i32_e32 v7, 31, v6
	v_lshl_add_u64 v[10:11], v[6:7], 1, v[4:5]
	global_load_dwordx2 v[6:7], v[10:11], off
	global_load_dwordx2 v[4:5], v[10:11], off offset:32
.LBB3_15:
	s_or_b64 exec, exec, s[20:21]
	s_lshr_b32 s2, s7, 31
	s_add_i32 s2, s7, s2
	s_lshr_b32 s2, s2, 1
	s_mul_i32 s2, s2, s3
	v_lshrrev_b32_e32 v9, 1, v8
	v_add_u32_e32 v9, s2, v9
	v_lshl_add_u32 v10, v9, 6, v26
	v_ashrrev_i32_e32 v11, 31, v10
	v_lshl_add_u64 v[10:11], v[10:11], 2, s[18:19]
	global_load_dword v10, v[10:11], off
	v_ashrrev_i32_e32 v11, 31, v8
	v_lshrrev_b32_e32 v11, 30, v11
	v_add_u32_e32 v8, v8, v11
	v_lshrrev_b32_e32 v8, 2, v8
	v_mul_lo_u32 v8, s6, v8
	v_lshl_or_b32 v9, s3, 4, v29
	v_lshlrev_b32_e32 v8, 4, v8
	v_add_lshl_u32 v8, v9, v8, 1
	v_ashrrev_i32_e32 v9, 31, v8
	v_lshl_add_u64 v[8:9], v[8:9], 1, s[8:9]
	global_load_dword v8, v[8:9], off
	v_mov_b32_e32 v9, 0xf000f
	v_mov_b32_e32 v11, 0x43004300
	s_mov_b32 s2, 0x5040100
	s_waitcnt vmcnt(1)
	v_lshrrev_b32_e32 v12, 4, v10
	v_lshrrev_b32_e32 v13, 8, v10
	;; [unrolled: 1-line block ×3, first 2 shown]
	;;#ASMSTART
	v_and_or_b32 v10, v10, v9, v11
	;;#ASMEND
	;;#ASMSTART
	v_and_or_b32 v12, v12, v9, v11
	;;#ASMEND
	;;#ASMSTART
	v_and_or_b32 v13, v13, v9, v11
	;;#ASMEND
	;;#ASMSTART
	v_and_or_b32 v9, v14, v9, v11
	;;#ASMEND
	s_waitcnt vmcnt(0)
	v_and_b32_e32 v14, 0xffff0000, v8
	v_and_b32_e32 v11, 0xffff0000, v10
	v_lshlrev_b32_e32 v10, 16, v10
	v_and_b32_e32 v15, 0xffff0000, v12
	v_lshlrev_b32_e32 v12, 16, v12
	v_add_f32_e32 v11, 0xc3080000, v11
	v_add_f32_e32 v10, 0xc3080000, v10
	v_and_b32_e32 v16, 0xffff0000, v13
	v_lshlrev_b32_e32 v13, 16, v13
	v_and_b32_e32 v17, 0xffff0000, v9
	v_lshlrev_b32_e32 v9, 16, v9
	v_add_f32_e32 v15, 0xc3080000, v15
	v_add_f32_e32 v12, 0xc3080000, v12
	v_cvt_pk_bf16_f32 v11, v11, s0
	v_cvt_pk_bf16_f32 v10, v10, s0
	v_add_f32_e32 v16, 0xc3080000, v16
	v_add_f32_e32 v13, 0xc3080000, v13
	;; [unrolled: 1-line block ×4, first 2 shown]
	v_cvt_pk_bf16_f32 v15, v15, s0
	v_cvt_pk_bf16_f32 v12, v12, s0
	v_lshlrev_b32_e32 v8, 16, v8
	v_cvt_pk_bf16_f32 v16, v16, s0
	v_cvt_pk_bf16_f32 v13, v13, s0
	;; [unrolled: 1-line block ×4, first 2 shown]
	v_lshlrev_b32_e32 v10, 16, v10
	v_lshlrev_b32_e32 v11, 16, v11
	;; [unrolled: 1-line block ×4, first 2 shown]
	v_fma_f32 v10, v10, v8, v14
	v_fma_f32 v11, v11, v8, v14
	v_lshlrev_b32_e32 v13, 16, v13
	v_lshlrev_b32_e32 v16, 16, v16
	;; [unrolled: 1-line block ×4, first 2 shown]
	v_fma_f32 v12, v12, v8, v14
	v_fma_f32 v15, v15, v8, v14
	v_cvt_pk_bf16_f32 v10, v10, s0
	v_cvt_pk_bf16_f32 v11, v11, s0
	v_fma_f32 v13, v13, v8, v14
	v_fma_f32 v16, v16, v8, v14
	;; [unrolled: 1-line block ×3, first 2 shown]
	v_fmac_f32_e32 v14, v17, v8
	v_cvt_pk_bf16_f32 v12, v12, s0
	v_cvt_pk_bf16_f32 v15, v15, s0
	;; [unrolled: 1-line block ×5, first 2 shown]
	v_perm_b32 v8, v11, v10, s2
	v_perm_b32 v9, v15, v12, s2
	v_cvt_pk_bf16_f32 v11, v14, s0
	v_perm_b32 v10, v16, v13, s2
	v_mfma_f32_16x16x16_bf16 v[6:9], v[6:7], v[8:9], 0
	v_perm_b32 v11, v11, v17, s2
	s_nop 1
	v_mfma_f32_16x16x16_bf16 v[10:13], v[4:5], v[10:11], 0
	s_nop 3
	v_add_f32_e64 v2, v2, v8
	v_add_f32_e64 v3, v3, v9
	v_pk_add_f32 v[0:1], v[0:1], v[6:7]
	s_nop 0
	v_pk_add_f32 v[2:3], v[2:3], v[12:13]
	v_pk_add_f32 v[0:1], v[0:1], v[10:11]
.LBB3_16:
	s_or_b64 exec, exec, s[0:1]
	v_lshlrev_b32_e32 v29, 4, v26
	v_lshl_add_u32 v4, v28, 10, v29
	v_cmp_eq_u32_e32 vcc, 0, v28
	ds_write_b128 v4, v[0:3]
	s_waitcnt lgkmcnt(0)
	s_barrier
	s_and_saveexec_b64 s[0:1], vcc
	s_cbranch_execz .LBB3_25
; %bb.17:
	v_add_u32_e32 v6, 12, v29
	v_add_u32_e32 v4, 0x404, v29
	v_add_u32_e32 v5, 0x804, v29
	v_add_u32_e32 v7, 0xc04, v29
	v_add_u32_e32 v8, 0x1004, v29
	v_add_u32_e32 v22, 0x1804, v29
	v_add_u32_e32 v24, 0x1c04, v29
	ds_read2st64_b32 v[0:1], v6 offset1:4
	ds_read2st64_b32 v[2:3], v6 offset0:8 offset1:12
	ds_read2_b32 v[10:11], v29 offset0:1 offset1:2
	ds_read2_b32 v[12:13], v4 offset1:1
	ds_read2_b32 v[14:15], v5 offset1:1
	;; [unrolled: 1-line block ×3, first 2 shown]
	ds_read2st64_b32 v[4:5], v6 offset0:16 offset1:20
	v_add_u32_e32 v9, 0x1404, v29
	ds_read2st64_b32 v[6:7], v6 offset0:24 offset1:28
	ds_read2_b32 v[18:19], v8 offset1:1
	ds_read2_b32 v[20:21], v9 offset1:1
	;; [unrolled: 1-line block ×4, first 2 shown]
	v_and_b32_e32 v8, 0xfc, v27
	v_lshl_add_u32 v27, s4, 4, v8
	s_lshl_b32 s0, s3, 4
	v_mul_lo_u32 v30, s13, v27
	v_and_or_b32 v8, v26, 15, s0
	v_ashrrev_i32_e32 v31, 31, v30
	v_lshl_add_u64 v[30:31], v[30:31], 1, s[10:11]
	v_ashrrev_i32_e32 v9, 31, v8
	v_lshl_add_u64 v[8:9], v[8:9], 1, v[30:31]
	v_cmp_gt_i32_e32 vcc, s12, v27
	s_and_saveexec_b64 s[0:1], vcc
	s_cbranch_execz .LBB3_19
; %bb.18:
	ds_read2st64_b32 v[30:31], v29 offset1:4
	ds_read2st64_b32 v[32:33], v29 offset0:8 offset1:12
	ds_read2st64_b32 v[34:35], v29 offset0:16 offset1:20
	;; [unrolled: 1-line block ×3, first 2 shown]
	s_waitcnt lgkmcnt(3)
	v_add_f32_e32 v26, 0, v30
	v_add_f32_e32 v26, v26, v31
	s_waitcnt lgkmcnt(2)
	v_add_f32_e32 v26, v26, v32
	v_add_f32_e32 v26, v26, v33
	;; [unrolled: 3-line block ×4, first 2 shown]
	v_cvt_pk_bf16_f32 v26, v26, s0
	global_store_short v[8:9], v26, off
.LBB3_19:
	s_or_b64 exec, exec, s[0:1]
	v_or_b32_e32 v26, 1, v27
	v_cmp_gt_i32_e32 vcc, s12, v26
	s_and_saveexec_b64 s[0:1], vcc
	s_cbranch_execz .LBB3_21
; %bb.20:
	s_waitcnt lgkmcnt(9)
	v_add_f32_e32 v10, 0, v10
	s_waitcnt lgkmcnt(8)
	v_add_f32_e32 v10, v10, v12
	;; [unrolled: 2-line block ×8, first 2 shown]
	s_ashr_i32 s3, s13, 31
	s_mov_b32 s2, s13
	v_cvt_pk_bf16_f32 v10, v10, s0
	v_lshl_add_u64 v[28:29], s[2:3], 1, v[8:9]
	global_store_short v[28:29], v10, off
.LBB3_21:
	s_or_b64 exec, exec, s[0:1]
	s_waitcnt lgkmcnt(9)
	v_or_b32_e32 v10, 2, v27
	v_cmp_gt_i32_e32 vcc, s12, v10
	s_and_saveexec_b64 s[0:1], vcc
	s_cbranch_execz .LBB3_23
; %bb.22:
	v_add_f32_e32 v10, 0, v11
	s_waitcnt lgkmcnt(8)
	v_add_f32_e32 v10, v10, v13
	s_waitcnt lgkmcnt(7)
	;; [unrolled: 2-line block ×6, first 2 shown]
	v_add_f32_e32 v10, v10, v23
	s_lshl_b32 s2, s13, 1
	s_waitcnt lgkmcnt(0)
	v_add_f32_e32 v10, v10, v25
	s_ashr_i32 s3, s2, 31
	v_cvt_pk_bf16_f32 v12, v10, s0
	v_lshl_add_u64 v[10:11], s[2:3], 1, v[8:9]
	global_store_short v[10:11], v12, off
.LBB3_23:
	s_or_b64 exec, exec, s[0:1]
	v_or_b32_e32 v10, 3, v27
	v_cmp_gt_i32_e32 vcc, s12, v10
	s_and_b64 exec, exec, vcc
	s_cbranch_execz .LBB3_25
; %bb.24:
	v_add_f32_e32 v0, 0, v0
	v_add_f32_e32 v0, v0, v1
	;; [unrolled: 1-line block ×4, first 2 shown]
	s_waitcnt lgkmcnt(5)
	v_add_f32_e32 v0, v0, v4
	v_add_f32_e32 v0, v0, v5
	s_waitcnt lgkmcnt(4)
	v_add_f32_e32 v0, v0, v6
	v_add_f32_e32 v0, v0, v7
	v_cvt_pk_bf16_f32 v2, v0, s0
	s_mul_i32 s0, s13, 3
	s_ashr_i32 s1, s0, 31
	v_lshl_add_u64 v[0:1], s[0:1], 1, v[8:9]
	global_store_short v[0:1], v2, off
.LBB3_25:
	s_endpgm
	.section	.rodata,"a",@progbits
	.p2align	6, 0x0
	.amdhsa_kernel _ZN2at6native30tinygemm_m16n8k16_chunk_kernelINS0_10ALayout_RMILNS0_14KReductionTypeE0EEENS0_15BLayout_TC_int4ILi2ELi64EEES4_Li8ELi8EEEvPKvS8_S8_Pviiiiii
		.amdhsa_group_segment_fixed_size 8192
		.amdhsa_private_segment_fixed_size 0
		.amdhsa_kernarg_size 56
		.amdhsa_user_sgpr_count 2
		.amdhsa_user_sgpr_dispatch_ptr 0
		.amdhsa_user_sgpr_queue_ptr 0
		.amdhsa_user_sgpr_kernarg_segment_ptr 1
		.amdhsa_user_sgpr_dispatch_id 0
		.amdhsa_user_sgpr_kernarg_preload_length 0
		.amdhsa_user_sgpr_kernarg_preload_offset 0
		.amdhsa_user_sgpr_private_segment_size 0
		.amdhsa_uses_dynamic_stack 0
		.amdhsa_enable_private_segment 0
		.amdhsa_system_sgpr_workgroup_id_x 1
		.amdhsa_system_sgpr_workgroup_id_y 1
		.amdhsa_system_sgpr_workgroup_id_z 1
		.amdhsa_system_sgpr_workgroup_info 0
		.amdhsa_system_vgpr_workitem_id 1
		.amdhsa_next_free_vgpr 65
		.amdhsa_next_free_sgpr 27
		.amdhsa_accum_offset 68
		.amdhsa_reserve_vcc 1
		.amdhsa_float_round_mode_32 0
		.amdhsa_float_round_mode_16_64 0
		.amdhsa_float_denorm_mode_32 3
		.amdhsa_float_denorm_mode_16_64 3
		.amdhsa_dx10_clamp 1
		.amdhsa_ieee_mode 1
		.amdhsa_fp16_overflow 0
		.amdhsa_tg_split 0
		.amdhsa_exception_fp_ieee_invalid_op 0
		.amdhsa_exception_fp_denorm_src 0
		.amdhsa_exception_fp_ieee_div_zero 0
		.amdhsa_exception_fp_ieee_overflow 0
		.amdhsa_exception_fp_ieee_underflow 0
		.amdhsa_exception_fp_ieee_inexact 0
		.amdhsa_exception_int_div_zero 0
	.end_amdhsa_kernel
	.section	.text._ZN2at6native30tinygemm_m16n8k16_chunk_kernelINS0_10ALayout_RMILNS0_14KReductionTypeE0EEENS0_15BLayout_TC_int4ILi2ELi64EEES4_Li8ELi8EEEvPKvS8_S8_Pviiiiii,"axG",@progbits,_ZN2at6native30tinygemm_m16n8k16_chunk_kernelINS0_10ALayout_RMILNS0_14KReductionTypeE0EEENS0_15BLayout_TC_int4ILi2ELi64EEES4_Li8ELi8EEEvPKvS8_S8_Pviiiiii,comdat
.Lfunc_end3:
	.size	_ZN2at6native30tinygemm_m16n8k16_chunk_kernelINS0_10ALayout_RMILNS0_14KReductionTypeE0EEENS0_15BLayout_TC_int4ILi2ELi64EEES4_Li8ELi8EEEvPKvS8_S8_Pviiiiii, .Lfunc_end3-_ZN2at6native30tinygemm_m16n8k16_chunk_kernelINS0_10ALayout_RMILNS0_14KReductionTypeE0EEENS0_15BLayout_TC_int4ILi2ELi64EEES4_Li8ELi8EEEvPKvS8_S8_Pviiiiii
                                        ; -- End function
	.set _ZN2at6native30tinygemm_m16n8k16_chunk_kernelINS0_10ALayout_RMILNS0_14KReductionTypeE0EEENS0_15BLayout_TC_int4ILi2ELi64EEES4_Li8ELi8EEEvPKvS8_S8_Pviiiiii.num_vgpr, 65
	.set _ZN2at6native30tinygemm_m16n8k16_chunk_kernelINS0_10ALayout_RMILNS0_14KReductionTypeE0EEENS0_15BLayout_TC_int4ILi2ELi64EEES4_Li8ELi8EEEvPKvS8_S8_Pviiiiii.num_agpr, 0
	.set _ZN2at6native30tinygemm_m16n8k16_chunk_kernelINS0_10ALayout_RMILNS0_14KReductionTypeE0EEENS0_15BLayout_TC_int4ILi2ELi64EEES4_Li8ELi8EEEvPKvS8_S8_Pviiiiii.numbered_sgpr, 27
	.set _ZN2at6native30tinygemm_m16n8k16_chunk_kernelINS0_10ALayout_RMILNS0_14KReductionTypeE0EEENS0_15BLayout_TC_int4ILi2ELi64EEES4_Li8ELi8EEEvPKvS8_S8_Pviiiiii.num_named_barrier, 0
	.set _ZN2at6native30tinygemm_m16n8k16_chunk_kernelINS0_10ALayout_RMILNS0_14KReductionTypeE0EEENS0_15BLayout_TC_int4ILi2ELi64EEES4_Li8ELi8EEEvPKvS8_S8_Pviiiiii.private_seg_size, 0
	.set _ZN2at6native30tinygemm_m16n8k16_chunk_kernelINS0_10ALayout_RMILNS0_14KReductionTypeE0EEENS0_15BLayout_TC_int4ILi2ELi64EEES4_Li8ELi8EEEvPKvS8_S8_Pviiiiii.uses_vcc, 1
	.set _ZN2at6native30tinygemm_m16n8k16_chunk_kernelINS0_10ALayout_RMILNS0_14KReductionTypeE0EEENS0_15BLayout_TC_int4ILi2ELi64EEES4_Li8ELi8EEEvPKvS8_S8_Pviiiiii.uses_flat_scratch, 0
	.set _ZN2at6native30tinygemm_m16n8k16_chunk_kernelINS0_10ALayout_RMILNS0_14KReductionTypeE0EEENS0_15BLayout_TC_int4ILi2ELi64EEES4_Li8ELi8EEEvPKvS8_S8_Pviiiiii.has_dyn_sized_stack, 0
	.set _ZN2at6native30tinygemm_m16n8k16_chunk_kernelINS0_10ALayout_RMILNS0_14KReductionTypeE0EEENS0_15BLayout_TC_int4ILi2ELi64EEES4_Li8ELi8EEEvPKvS8_S8_Pviiiiii.has_recursion, 0
	.set _ZN2at6native30tinygemm_m16n8k16_chunk_kernelINS0_10ALayout_RMILNS0_14KReductionTypeE0EEENS0_15BLayout_TC_int4ILi2ELi64EEES4_Li8ELi8EEEvPKvS8_S8_Pviiiiii.has_indirect_call, 0
	.section	.AMDGPU.csdata,"",@progbits
; Kernel info:
; codeLenInByte = 4092
; TotalNumSgprs: 33
; NumVgprs: 65
; NumAgprs: 0
; TotalNumVgprs: 65
; ScratchSize: 0
; MemoryBound: 0
; FloatMode: 240
; IeeeMode: 1
; LDSByteSize: 8192 bytes/workgroup (compile time only)
; SGPRBlocks: 4
; VGPRBlocks: 8
; NumSGPRsForWavesPerEU: 33
; NumVGPRsForWavesPerEU: 65
; AccumOffset: 68
; Occupancy: 7
; WaveLimiterHint : 1
; COMPUTE_PGM_RSRC2:SCRATCH_EN: 0
; COMPUTE_PGM_RSRC2:USER_SGPR: 2
; COMPUTE_PGM_RSRC2:TRAP_HANDLER: 0
; COMPUTE_PGM_RSRC2:TGID_X_EN: 1
; COMPUTE_PGM_RSRC2:TGID_Y_EN: 1
; COMPUTE_PGM_RSRC2:TGID_Z_EN: 1
; COMPUTE_PGM_RSRC2:TIDIG_COMP_CNT: 1
; COMPUTE_PGM_RSRC3_GFX90A:ACCUM_OFFSET: 16
; COMPUTE_PGM_RSRC3_GFX90A:TG_SPLIT: 0
	.section	.text._ZN2at6native30tinygemm_m16n8k16_chunk_kernelINS0_10ALayout_RMILNS0_14KReductionTypeE0EEENS0_15BLayout_TC_int4ILi4ELi64EEES4_Li8ELi8EEEvPKvS8_S8_Pviiiiii,"axG",@progbits,_ZN2at6native30tinygemm_m16n8k16_chunk_kernelINS0_10ALayout_RMILNS0_14KReductionTypeE0EEENS0_15BLayout_TC_int4ILi4ELi64EEES4_Li8ELi8EEEvPKvS8_S8_Pviiiiii,comdat
	.protected	_ZN2at6native30tinygemm_m16n8k16_chunk_kernelINS0_10ALayout_RMILNS0_14KReductionTypeE0EEENS0_15BLayout_TC_int4ILi4ELi64EEES4_Li8ELi8EEEvPKvS8_S8_Pviiiiii ; -- Begin function _ZN2at6native30tinygemm_m16n8k16_chunk_kernelINS0_10ALayout_RMILNS0_14KReductionTypeE0EEENS0_15BLayout_TC_int4ILi4ELi64EEES4_Li8ELi8EEEvPKvS8_S8_Pviiiiii
	.globl	_ZN2at6native30tinygemm_m16n8k16_chunk_kernelINS0_10ALayout_RMILNS0_14KReductionTypeE0EEENS0_15BLayout_TC_int4ILi4ELi64EEES4_Li8ELi8EEEvPKvS8_S8_Pviiiiii
	.p2align	8
	.type	_ZN2at6native30tinygemm_m16n8k16_chunk_kernelINS0_10ALayout_RMILNS0_14KReductionTypeE0EEENS0_15BLayout_TC_int4ILi4ELi64EEES4_Li8ELi8EEEvPKvS8_S8_Pviiiiii,@function
_ZN2at6native30tinygemm_m16n8k16_chunk_kernelINS0_10ALayout_RMILNS0_14KReductionTypeE0EEENS0_15BLayout_TC_int4ILi4ELi64EEES4_Li8ELi8EEEvPKvS8_S8_Pviiiiii: ; @_ZN2at6native30tinygemm_m16n8k16_chunk_kernelINS0_10ALayout_RMILNS0_14KReductionTypeE0EEENS0_15BLayout_TC_int4ILi4ELi64EEES4_Li8ELi8EEEvPKvS8_S8_Pviiiiii
; %bb.0:
	s_load_dwordx2 s[6:7], s[0:1], 0x30
	s_load_dwordx4 s[16:19], s[0:1], 0x0
	s_load_dwordx8 s[8:15], s[0:1], 0x10
	v_bfe_u32 v28, v0, 10, 10
	v_and_b32_e32 v26, 0x3ff, v0
	s_waitcnt lgkmcnt(0)
	s_ashr_i32 s5, s7, 31
	s_lshr_b32 s0, s5, 29
	s_add_i32 s0, s7, s0
	v_lshlrev_b32_e32 v0, 3, v28
	s_and_b32 s15, s0, -8
	v_lshl_add_u32 v31, s2, 6, v0
	v_mov_b32_e32 v0, 0
	v_cmp_gt_i32_e32 vcc, s15, v31
	v_mov_b32_e32 v1, v0
	v_mov_b32_e32 v2, v0
	;; [unrolled: 1-line block ×3, first 2 shown]
	v_and_b32_e32 v29, 15, v26
	v_lshrrev_b32_e32 v27, 2, v26
	v_lshlrev_b32_e32 v30, 1, v26
	s_and_saveexec_b64 s[20:21], vcc
	s_cbranch_execz .LBB4_12
; %bb.1:
	v_lshl_or_b32 v1, s4, 4, v29
	s_lshr_b32 s0, s5, 30
	v_mul_lo_u32 v2, s14, v1
	s_add_i32 s0, s7, s0
	v_and_b32_e32 v6, 0xfc, v27
	v_ashrrev_i32_e32 v3, 31, v2
	v_cmp_gt_i32_e32 vcc, s12, v1
	s_ashr_i32 s26, s0, 2
	s_lshl_b32 s22, s6, 5
	s_lshl_b32 s0, s2, 10
	v_lshlrev_b32_e32 v1, 7, v28
	v_lshl_add_u64 v[4:5], v[2:3], 1, s[16:17]
	s_mul_i32 s26, s26, s3
	v_lshl_or_b32 v32, s3, 4, v29
	s_lshl_b32 s27, s6, 4
	s_ashr_i32 s23, s22, 31
	v_add3_u32 v6, s0, v1, v6
	s_mov_b64 s[24:25], 0
	v_mov_b32_e32 v33, 0xf000f
	v_mov_b32_e32 v34, 0x43004300
	s_mov_b32 s2, 0x5040100
	v_mov_b32_e32 v1, v0
	v_mov_b32_e32 v2, v0
	;; [unrolled: 1-line block ×3, first 2 shown]
	s_branch .LBB4_3
.LBB4_2:                                ;   in Loop: Header=BB4_3 Depth=1
	s_or_b64 exec, exec, s[0:1]
	v_ashrrev_i32_e32 v7, 2, v31
	v_add_u32_e32 v24, s26, v7
	v_lshl_add_u32 v24, v24, 7, v30
	v_ashrrev_i32_e32 v25, 31, v24
	v_lshl_add_u64 v[36:37], v[24:25], 2, s[18:19]
	global_load_dwordx2 v[38:39], v[36:37], off
	v_mul_lo_u32 v7, s27, v7
	v_add_lshl_u32 v24, v32, v7, 1
	v_ashrrev_i32_e32 v25, 31, v24
	v_lshl_add_u64 v[40:41], v[24:25], 1, s[8:9]
	global_load_dword v7, v[40:41], off
	global_load_dwordx2 v[24:25], v[36:37], off offset:512
	v_lshl_add_u64 v[36:37], s[22:23], 1, v[40:41]
	global_load_dword v35, v[36:37], off
	s_waitcnt vmcnt(3)
	;;#ASMSTART
	v_and_or_b32 v36, v38, v33, v34
	;;#ASMEND
	v_add_u32_e32 v31, 64, v31
	v_and_b32_e32 v45, 0xffff0000, v36
	v_lshlrev_b32_e32 v36, 16, v36
	v_add_f32_e32 v45, 0xc3080000, v45
	v_add_f32_e32 v36, 0xc3080000, v36
	v_cvt_pk_bf16_f32 v45, v45, s0
	v_cvt_pk_bf16_f32 v36, v36, s0
	v_lshlrev_b32_e32 v36, 16, v36
	v_lshlrev_b32_e32 v45, 16, v45
	v_add_u32_e32 v6, 0x400, v6
	v_lshrrev_b32_e32 v37, 4, v38
	v_lshrrev_b32_e32 v40, 8, v38
	;; [unrolled: 1-line block ×6, first 2 shown]
	;;#ASMSTART
	v_and_or_b32 v37, v37, v33, v34
	;;#ASMEND
	;;#ASMSTART
	v_and_or_b32 v40, v40, v33, v34
	;;#ASMEND
	;; [unrolled: 3-line block ×7, first 2 shown]
	s_nop 0
	v_and_b32_e32 v46, 0xffff0000, v37
	v_and_b32_e32 v52, 0xffff0000, v44
	v_lshlrev_b32_e32 v44, 16, v44
	v_add_f32_e32 v44, 0xc3080000, v44
	v_lshlrev_b32_e32 v37, 16, v37
	v_and_b32_e32 v47, 0xffff0000, v40
	v_lshlrev_b32_e32 v40, 16, v40
	v_and_b32_e32 v48, 0xffff0000, v38
	;; [unrolled: 2-line block ×5, first 2 shown]
	v_lshlrev_b32_e32 v43, 16, v43
	v_cvt_pk_bf16_f32 v44, v44, s0
	s_waitcnt vmcnt(2)
	v_and_b32_e32 v41, 0xffff0000, v7
	v_lshlrev_b32_e32 v7, 16, v7
	v_add_f32_e32 v46, 0xc3080000, v46
	v_add_f32_e32 v37, 0xc3080000, v37
	v_add_f32_e32 v47, 0xc3080000, v47
	v_add_f32_e32 v40, 0xc3080000, v40
	v_add_f32_e32 v48, 0xc3080000, v48
	v_add_f32_e32 v38, 0xc3080000, v38
	v_add_f32_e32 v49, 0xc3080000, v49
	v_add_f32_e32 v39, 0xc3080000, v39
	v_add_f32_e32 v50, 0xc3080000, v50
	v_add_f32_e32 v42, 0xc3080000, v42
	v_add_f32_e32 v51, 0xc3080000, v51
	v_add_f32_e32 v43, 0xc3080000, v43
	v_add_f32_e32 v52, 0xc3080000, v52
	v_lshlrev_b32_e32 v44, 16, v44
	v_cvt_pk_bf16_f32 v46, v46, s0
	v_cvt_pk_bf16_f32 v37, v37, s0
	;; [unrolled: 1-line block ×13, first 2 shown]
	v_fma_f32 v44, v44, v7, v41
	v_lshlrev_b32_e32 v37, 16, v37
	v_lshlrev_b32_e32 v46, 16, v46
	;; [unrolled: 1-line block ×12, first 2 shown]
	v_cvt_pk_bf16_f32 v53, v44, s0
	v_lshlrev_b32_e32 v44, 16, v52
	v_fma_f32 v36, v36, v7, v41
	v_fma_f32 v45, v45, v7, v41
	;; [unrolled: 1-line block ×14, first 2 shown]
	v_fmac_f32_e32 v41, v44, v7
	s_waitcnt vmcnt(1)
	v_lshrrev_b32_e32 v44, 4, v24
	v_cvt_pk_bf16_f32 v7, v41, s0
	;;#ASMSTART
	v_and_or_b32 v41, v24, v33, v34
	;;#ASMEND
	;;#ASMSTART
	v_and_or_b32 v44, v44, v33, v34
	;;#ASMEND
	v_lshrrev_b32_e32 v52, 8, v24
	v_and_b32_e32 v55, 0xffff0000, v44
	v_lshlrev_b32_e32 v44, 16, v44
	v_add_f32_e32 v44, 0xc3080000, v44
	v_cvt_pk_bf16_f32 v44, v44, s0
	;;#ASMSTART
	v_and_or_b32 v52, v52, v33, v34
	;;#ASMEND
	v_lshrrev_b32_e32 v24, 12, v24
	v_add_f32_e32 v55, 0xc3080000, v55
	s_waitcnt vmcnt(0)
	v_and_b32_e32 v58, 0xffff0000, v35
	v_lshlrev_b32_e32 v35, 16, v35
	v_lshlrev_b32_e32 v44, 16, v44
	v_cvt_pk_bf16_f32 v36, v36, s0
	v_cvt_pk_bf16_f32 v45, v45, s0
	;;#ASMSTART
	v_and_or_b32 v24, v24, v33, v34
	;;#ASMEND
	v_cvt_pk_bf16_f32 v55, v55, s0
	v_and_b32_e32 v56, 0xffff0000, v52
	v_lshlrev_b32_e32 v52, 16, v52
	v_fma_f32 v44, v44, v35, v58
	v_and_b32_e32 v54, 0xffff0000, v41
	v_lshlrev_b32_e32 v41, 16, v41
	v_add_f32_e32 v52, 0xc3080000, v52
	v_perm_b32 v36, v45, v36, s2
	v_and_b32_e32 v45, 0xffff0000, v24
	v_lshlrev_b32_e32 v24, 16, v24
	v_cvt_pk_bf16_f32 v59, v44, s0
	v_lshlrev_b32_e32 v44, 16, v55
	v_add_f32_e32 v41, 0xc3080000, v41
	v_cvt_pk_bf16_f32 v52, v52, s0
	v_add_f32_e32 v24, 0xc3080000, v24
	v_fma_f32 v44, v44, v35, v58
	v_cvt_pk_bf16_f32 v37, v37, s0
	v_cvt_pk_bf16_f32 v46, v46, s0
	;; [unrolled: 1-line block ×3, first 2 shown]
	v_add_f32_e32 v56, 0xc3080000, v56
	v_cvt_pk_bf16_f32 v24, v24, s0
	v_cvt_pk_bf16_f32 v55, v44, s0
	v_lshlrev_b32_e32 v44, 16, v52
	v_cvt_pk_bf16_f32 v38, v38, s0
	v_cvt_pk_bf16_f32 v48, v48, s0
	v_add_f32_e32 v54, 0xc3080000, v54
	v_cvt_pk_bf16_f32 v56, v56, s0
	v_perm_b32 v37, v46, v37, s2
	v_add_f32_e32 v45, 0xc3080000, v45
	v_lshlrev_b32_e32 v46, 16, v41
	v_fma_f32 v44, v44, v35, v58
	v_lshlrev_b32_e32 v24, 16, v24
	v_cvt_pk_bf16_f32 v54, v54, s0
	v_cvt_pk_bf16_f32 v45, v45, s0
	v_perm_b32 v41, v48, v38, s2
	v_lshrrev_b32_e32 v38, 4, v25
	v_fma_f32 v46, v46, v35, v58
	v_cvt_pk_bf16_f32 v52, v44, s0
	v_lshlrev_b32_e32 v44, 16, v56
	v_fma_f32 v24, v24, v35, v58
	v_cvt_pk_bf16_f32 v40, v40, s0
	v_cvt_pk_bf16_f32 v47, v47, s0
	;;#ASMSTART
	v_and_or_b32 v57, v25, v33, v34
	;;#ASMEND
	v_cvt_pk_bf16_f32 v48, v46, s0
	v_lshlrev_b32_e32 v46, 16, v54
	v_fma_f32 v44, v44, v35, v58
	v_cvt_pk_bf16_f32 v60, v24, s0
	v_lshlrev_b32_e32 v24, 16, v45
	;;#ASMSTART
	v_and_or_b32 v38, v38, v33, v34
	;;#ASMEND
	v_cvt_pk_bf16_f32 v39, v39, s0
	v_cvt_pk_bf16_f32 v49, v49, s0
	;; [unrolled: 1-line block ×4, first 2 shown]
	v_perm_b32 v40, v47, v40, s2
	v_lshrrev_b32_e32 v47, 8, v25
	v_lshrrev_b32_e32 v25, 12, v25
	v_fma_f32 v46, v46, v35, v58
	v_cvt_pk_bf16_f32 v56, v44, s0
	v_fma_f32 v24, v24, v35, v58
	v_and_b32_e32 v44, 0xffff0000, v38
	v_lshlrev_b32_e32 v38, 16, v38
	v_cvt_pk_bf16_f32 v54, v46, s0
	v_cvt_pk_bf16_f32 v61, v24, s0
	;;#ASMSTART
	v_and_or_b32 v46, v47, v33, v34
	;;#ASMEND
	;;#ASMSTART
	v_and_or_b32 v47, v25, v33, v34
	;;#ASMEND
	v_perm_b32 v24, v49, v39, s2
	v_perm_b32 v25, v50, v42, s2
	v_and_b32_e32 v39, 0xffff0000, v57
	v_lshlrev_b32_e32 v42, 16, v57
	v_add_f32_e32 v38, 0xc3080000, v38
	v_cvt_pk_bf16_f32 v43, v43, s0
	v_cvt_pk_bf16_f32 v51, v51, s0
	v_add_f32_e32 v39, 0xc3080000, v39
	v_add_f32_e32 v42, 0xc3080000, v42
	;; [unrolled: 1-line block ×3, first 2 shown]
	v_cvt_pk_bf16_f32 v38, v38, s0
	v_cvt_pk_bf16_f32 v39, v39, s0
	;; [unrolled: 1-line block ×4, first 2 shown]
	v_perm_b32 v44, v51, v43, s2
	v_perm_b32 v45, v7, v53, s2
	v_and_b32_e32 v7, 0xffff0000, v46
	v_lshlrev_b32_e32 v43, 16, v46
	v_and_b32_e32 v46, 0xffff0000, v47
	v_lshlrev_b32_e32 v38, 16, v38
	v_add_f32_e32 v43, 0xc3080000, v43
	v_add_f32_e32 v46, 0xc3080000, v46
	v_lshlrev_b32_e32 v42, 16, v42
	v_lshlrev_b32_e32 v39, 16, v39
	v_fma_f32 v38, v38, v35, v58
	v_cvt_pk_bf16_f32 v43, v43, s0
	v_cvt_pk_bf16_f32 v53, v46, s0
	v_lshlrev_b32_e32 v46, 16, v47
	v_fma_f32 v42, v42, v35, v58
	v_fma_f32 v39, v39, v35, v58
	v_cvt_pk_bf16_f32 v63, v38, s0
	v_lshlrev_b32_e32 v38, 16, v49
	v_add_f32_e32 v46, 0xc3080000, v46
	v_cvt_pk_bf16_f32 v57, v42, s0
	v_cvt_pk_bf16_f32 v62, v39, s0
	v_fma_f32 v42, v38, v35, v58
	v_mfma_f32_16x16x16_bf16 v[36:39], v[12:13], v[36:37], 0
	v_lshlrev_b32_e32 v12, 16, v43
	v_cvt_pk_bf16_f32 v46, v46, s0
	v_cvt_pk_bf16_f32 v64, v42, s0
	v_fma_f32 v42, v12, v35, v58
	v_mfma_f32_16x16x16_bf16 v[10:13], v[10:11], v[40:41], 0
	v_cvt_pk_bf16_f32 v65, v42, s0
	v_add_f32_e32 v7, 0xc3080000, v7
	v_cvt_pk_bf16_f32 v7, v7, s0
	v_mfma_f32_16x16x16_bf16 v[40:43], v[8:9], v[24:25], 0
	v_lshlrev_b32_e32 v8, 16, v46
	v_fma_f32 v8, v8, v35, v58
	v_cvt_pk_bf16_f32 v24, v8, s0
	v_perm_b32 v8, v54, v48, s2
	v_perm_b32 v9, v55, v59, s2
	v_lshlrev_b32_e32 v7, 16, v7
	v_mfma_f32_16x16x16_bf16 v[44:47], v[14:15], v[44:45], 0
	v_lshlrev_b32_e32 v14, 16, v53
	v_fma_f32 v7, v7, v35, v58
	v_fmac_f32_e32 v58, v14, v35
	v_mfma_f32_16x16x16_bf16 v[48:51], v[20:21], v[8:9], 0
	v_perm_b32 v8, v56, v52, s2
	v_perm_b32 v9, v61, v60, s2
	v_pk_add_f32 v[2:3], v[2:3], v[38:39]
	v_pk_add_f32 v[0:1], v[0:1], v[36:37]
	v_mfma_f32_16x16x16_bf16 v[18:21], v[18:19], v[8:9], 0
	v_perm_b32 v8, v62, v57, s2
	v_perm_b32 v9, v64, v63, s2
	v_cvt_pk_bf16_f32 v7, v7, s0
	v_pk_add_f32 v[2:3], v[2:3], v[12:13]
	v_mfma_f32_16x16x16_bf16 v[14:17], v[16:17], v[8:9], 0
	v_cvt_pk_bf16_f32 v9, v58, s0
	v_pk_add_f32 v[0:1], v[0:1], v[10:11]
	v_perm_b32 v8, v7, v65, s2
	v_perm_b32 v9, v9, v24, s2
	v_pk_add_f32 v[2:3], v[2:3], v[42:43]
	v_pk_add_f32 v[0:1], v[0:1], v[40:41]
	v_mfma_f32_16x16x16_bf16 v[22:25], v[22:23], v[8:9], 0
	v_add_f32_e64 v2, v2, v46
	v_add_f32_e64 v3, v3, v47
	v_pk_add_f32 v[0:1], v[0:1], v[44:45]
	v_pk_add_f32 v[2:3], v[2:3], v[50:51]
	;; [unrolled: 1-line block ×7, first 2 shown]
	v_cmp_le_i32_e64 s[0:1], s15, v31
	v_pk_add_f32 v[2:3], v[2:3], v[24:25]
	v_pk_add_f32 v[0:1], v[0:1], v[22:23]
	s_or_b64 s[24:25], s[0:1], s[24:25]
	s_andn2_b64 exec, exec, s[24:25]
	s_cbranch_execz .LBB4_11
.LBB4_3:                                ; =>This Inner Loop Header: Depth=1
	v_ashrrev_i32_e32 v7, 31, v6
	v_lshl_add_u64 v[24:25], v[6:7], 1, v[4:5]
	v_mov_b32_e32 v8, 0
	v_mov_b32_e32 v12, 0
	;; [unrolled: 1-line block ×5, first 2 shown]
	s_and_saveexec_b64 s[0:1], vcc
	s_cbranch_execz .LBB4_5
; %bb.4:                                ;   in Loop: Header=BB4_3 Depth=1
	global_load_dwordx2 v[12:13], v[24:25], off
	global_load_dwordx2 v[10:11], v[24:25], off offset:32
.LBB4_5:                                ;   in Loop: Header=BB4_3 Depth=1
	s_or_b64 exec, exec, s[0:1]
	v_mov_b32_e32 v9, 0
	v_mov_b32_e32 v14, 0
	;; [unrolled: 1-line block ×3, first 2 shown]
	s_and_saveexec_b64 s[0:1], vcc
	s_cbranch_execz .LBB4_7
; %bb.6:                                ;   in Loop: Header=BB4_3 Depth=1
	global_load_dwordx2 v[8:9], v[24:25], off offset:64
	global_load_dwordx2 v[14:15], v[24:25], off offset:96
.LBB4_7:                                ;   in Loop: Header=BB4_3 Depth=1
	s_or_b64 exec, exec, s[0:1]
	v_mov_b32_e32 v16, 0
	v_mov_b32_e32 v20, 0
	;; [unrolled: 1-line block ×5, first 2 shown]
	s_and_saveexec_b64 s[0:1], vcc
	s_cbranch_execz .LBB4_9
; %bb.8:                                ;   in Loop: Header=BB4_3 Depth=1
	global_load_dwordx2 v[20:21], v[24:25], off offset:128
	global_load_dwordx2 v[18:19], v[24:25], off offset:160
.LBB4_9:                                ;   in Loop: Header=BB4_3 Depth=1
	s_or_b64 exec, exec, s[0:1]
	v_mov_b32_e32 v17, 0
	v_mov_b32_e32 v22, 0
	v_mov_b32_e32 v23, 0
	s_and_saveexec_b64 s[0:1], vcc
	s_cbranch_execz .LBB4_2
; %bb.10:                               ;   in Loop: Header=BB4_3 Depth=1
	global_load_dwordx2 v[16:17], v[24:25], off offset:192
	global_load_dwordx2 v[22:23], v[24:25], off offset:224
	s_branch .LBB4_2
.LBB4_11:
	s_or_b64 exec, exec, s[24:25]
.LBB4_12:
	s_or_b64 exec, exec, s[20:21]
	v_lshl_add_u32 v14, v28, 2, s15
	v_cmp_gt_u32_e32 vcc, s7, v14
	s_and_saveexec_b64 s[0:1], vcc
	s_cbranch_execz .LBB4_18
; %bb.13:
	v_lshl_or_b32 v8, s4, 4, v29
	v_and_b32_e32 v4, 0xfc, v27
	v_mul_lo_u32 v6, s14, v8
	v_lshl_add_u32 v4, v14, 4, v4
	v_ashrrev_i32_e32 v7, 31, v6
	v_lshl_add_u64 v[6:7], v[6:7], 1, s[16:17]
	v_ashrrev_i32_e32 v5, 31, v4
	v_lshl_add_u64 v[12:13], v[4:5], 1, v[6:7]
	v_cmp_gt_i32_e32 vcc, s12, v8
	v_mov_b32_e32 v4, 0
	v_mov_b32_e32 v8, 0
	;; [unrolled: 1-line block ×5, first 2 shown]
	s_and_saveexec_b64 s[14:15], vcc
	s_cbranch_execz .LBB4_15
; %bb.14:
	global_load_dwordx2 v[8:9], v[12:13], off
	global_load_dwordx2 v[6:7], v[12:13], off offset:32
.LBB4_15:
	s_or_b64 exec, exec, s[14:15]
	v_mov_b32_e32 v5, 0
	v_mov_b32_e32 v10, 0
	;; [unrolled: 1-line block ×3, first 2 shown]
	s_and_saveexec_b64 s[14:15], vcc
	s_cbranch_execz .LBB4_17
; %bb.16:
	global_load_dwordx2 v[4:5], v[12:13], off offset:64
	global_load_dwordx2 v[10:11], v[12:13], off offset:96
.LBB4_17:
	s_or_b64 exec, exec, s[14:15]
	s_lshr_b32 s2, s5, 30
	s_add_i32 s2, s7, s2
	s_lshr_b32 s2, s2, 2
	s_mul_i32 s2, s2, s3
	v_ashrrev_i32_e32 v14, 2, v14
	v_add_u32_e32 v12, s2, v14
	v_mul_lo_u32 v14, s6, v14
	v_lshl_or_b32 v15, s3, 4, v29
	v_lshlrev_b32_e32 v14, 4, v14
	v_lshl_add_u32 v12, v12, 7, v30
	v_add_lshl_u32 v14, v15, v14, 1
	v_ashrrev_i32_e32 v13, 31, v12
	v_ashrrev_i32_e32 v15, 31, v14
	v_lshl_add_u64 v[14:15], v[14:15], 1, s[8:9]
	v_lshl_add_u64 v[12:13], v[12:13], 2, s[18:19]
	global_load_dword v14, v[14:15], off
	v_mov_b32_e32 v15, 0xf000f
	global_load_dwordx2 v[12:13], v[12:13], off
	v_mov_b32_e32 v16, 0x43004300
	s_mov_b32 s2, 0x5040100
	s_waitcnt vmcnt(1)
	v_and_b32_e32 v20, 0xffff0000, v14
	v_lshlrev_b32_e32 v17, 16, v14
	s_waitcnt vmcnt(0)
	;;#ASMSTART
	v_and_or_b32 v14, v12, v15, v16
	;;#ASMEND
	v_lshrrev_b32_e32 v18, 4, v12
	v_lshrrev_b32_e32 v19, 8, v12
	;; [unrolled: 1-line block ×6, first 2 shown]
	;;#ASMSTART
	v_and_or_b32 v18, v18, v15, v16
	;;#ASMEND
	;;#ASMSTART
	v_and_or_b32 v19, v19, v15, v16
	;;#ASMEND
	;; [unrolled: 3-line block ×6, first 2 shown]
	v_and_b32_e32 v24, 0xffff0000, v14
	v_and_b32_e32 v29, 0xffff0000, v13
	v_lshlrev_b32_e32 v13, 16, v13
	v_add_f32_e32 v13, 0xc3080000, v13
	v_and_b32_e32 v25, 0xffff0000, v12
	v_lshlrev_b32_e32 v12, 16, v12
	v_cvt_pk_bf16_f32 v13, v13, s0
	v_add_f32_e32 v12, 0xc3080000, v12
	v_add_f32_e32 v29, 0xc3080000, v29
	v_lshlrev_b32_e32 v13, 16, v13
	v_and_b32_e32 v30, 0xffff0000, v21
	v_lshlrev_b32_e32 v21, 16, v21
	v_cvt_pk_bf16_f32 v12, v12, s0
	v_cvt_pk_bf16_f32 v29, v29, s0
	v_fma_f32 v13, v13, v17, v20
	v_add_f32_e32 v21, 0xc3080000, v21
	v_lshlrev_b32_e32 v12, 16, v12
	v_cvt_pk_bf16_f32 v33, v13, s0
	v_lshlrev_b32_e32 v13, 16, v29
	v_and_b32_e32 v31, 0xffff0000, v22
	v_cvt_pk_bf16_f32 v21, v21, s0
	v_fma_f32 v12, v12, v17, v20
	v_fma_f32 v13, v13, v17, v20
	v_lshlrev_b32_e32 v14, 16, v14
	;;#ASMSTART
	v_and_or_b32 v15, v23, v15, v16
	;;#ASMEND
	v_and_b32_e32 v23, 0xffff0000, v18
	v_lshlrev_b32_e32 v18, 16, v18
	v_add_f32_e32 v30, 0xc3080000, v30
	v_cvt_pk_bf16_f32 v32, v12, s0
	v_add_f32_e32 v12, 0xc3080000, v31
	v_cvt_pk_bf16_f32 v29, v13, s0
	v_lshlrev_b32_e32 v13, 16, v21
	v_add_f32_e32 v16, 0xc3080000, v24
	v_add_f32_e32 v14, 0xc3080000, v14
	v_and_b32_e32 v24, 0xffff0000, v19
	v_lshlrev_b32_e32 v19, 16, v19
	v_add_f32_e32 v23, 0xc3080000, v23
	v_add_f32_e32 v18, 0xc3080000, v18
	v_cvt_pk_bf16_f32 v30, v30, s0
	v_cvt_pk_bf16_f32 v12, v12, s0
	v_lshlrev_b32_e32 v22, 16, v22
	v_and_b32_e32 v31, 0xffff0000, v15
	v_lshlrev_b32_e32 v15, 16, v15
	v_fma_f32 v13, v13, v17, v20
	v_cvt_pk_bf16_f32 v16, v16, s0
	v_cvt_pk_bf16_f32 v14, v14, s0
	v_add_f32_e32 v24, 0xc3080000, v24
	v_add_f32_e32 v19, 0xc3080000, v19
	;; [unrolled: 1-line block ×3, first 2 shown]
	v_cvt_pk_bf16_f32 v23, v23, s0
	v_cvt_pk_bf16_f32 v18, v18, s0
	v_add_f32_e32 v22, 0xc3080000, v22
	v_add_f32_e32 v15, 0xc3080000, v15
	v_cvt_pk_bf16_f32 v21, v13, s0
	v_lshlrev_b32_e32 v13, 16, v30
	v_lshlrev_b32_e32 v12, 16, v12
	v_cvt_pk_bf16_f32 v24, v24, s0
	v_cvt_pk_bf16_f32 v19, v19, s0
	;; [unrolled: 1-line block ×3, first 2 shown]
	v_lshlrev_b32_e32 v14, 16, v14
	v_lshlrev_b32_e32 v16, 16, v16
	v_lshlrev_b32_e32 v18, 16, v18
	v_lshlrev_b32_e32 v23, 16, v23
	v_cvt_pk_bf16_f32 v22, v22, s0
	v_cvt_pk_bf16_f32 v15, v15, s0
	v_fma_f32 v13, v13, v17, v20
	v_fma_f32 v12, v12, v17, v20
	;; [unrolled: 1-line block ×4, first 2 shown]
	v_lshlrev_b32_e32 v19, 16, v19
	v_lshlrev_b32_e32 v24, 16, v24
	;; [unrolled: 1-line block ×3, first 2 shown]
	v_fma_f32 v18, v18, v17, v20
	v_fma_f32 v23, v23, v17, v20
	v_add_f32_e32 v31, 0xc3080000, v31
	v_cvt_pk_bf16_f32 v30, v13, s0
	v_lshlrev_b32_e32 v13, 16, v22
	v_cvt_pk_bf16_f32 v34, v12, s0
	v_lshlrev_b32_e32 v12, 16, v15
	v_cvt_pk_bf16_f32 v14, v14, s0
	v_cvt_pk_bf16_f32 v16, v16, s0
	v_fma_f32 v19, v19, v17, v20
	v_fma_f32 v24, v24, v17, v20
	;; [unrolled: 1-line block ×3, first 2 shown]
	v_cvt_pk_bf16_f32 v18, v18, s0
	v_cvt_pk_bf16_f32 v23, v23, s0
	v_cvt_pk_bf16_f32 v31, v31, s0
	v_fma_f32 v13, v13, v17, v20
	v_fma_f32 v12, v12, v17, v20
	v_cvt_pk_bf16_f32 v19, v19, s0
	v_cvt_pk_bf16_f32 v24, v24, s0
	;; [unrolled: 1-line block ×5, first 2 shown]
	v_perm_b32 v12, v16, v14, s2
	v_perm_b32 v13, v23, v18, s2
	v_lshlrev_b32_e32 v16, 16, v31
	v_fmac_f32_e32 v20, v16, v17
	v_mfma_f32_16x16x16_bf16 v[12:15], v[8:9], v[12:13], 0
	v_perm_b32 v8, v24, v19, s2
	v_perm_b32 v9, v25, v32, s2
	v_perm_b32 v16, v29, v33, s2
	v_perm_b32 v17, v30, v21, s2
	v_mfma_f32_16x16x16_bf16 v[6:9], v[6:7], v[8:9], 0
	s_nop 2
	v_add_f32_e64 v2, v2, v14
	v_add_f32_e64 v3, v3, v15
	v_pk_add_f32 v[0:1], v[0:1], v[12:13]
	v_mfma_f32_16x16x16_bf16 v[16:19], v[4:5], v[16:17], 0
	v_cvt_pk_bf16_f32 v5, v20, s0
	v_perm_b32 v4, v34, v22, s2
	v_perm_b32 v5, v5, v35, s2
	v_pk_add_f32 v[2:3], v[2:3], v[8:9]
	v_pk_add_f32 v[0:1], v[0:1], v[6:7]
	v_mfma_f32_16x16x16_bf16 v[20:23], v[10:11], v[4:5], 0
	s_nop 1
	v_add_f32_e64 v2, v2, v18
	v_add_f32_e64 v3, v3, v19
	v_pk_add_f32 v[0:1], v[0:1], v[16:17]
	s_nop 2
	v_pk_add_f32 v[2:3], v[2:3], v[22:23]
	v_pk_add_f32 v[0:1], v[0:1], v[20:21]
.LBB4_18:
	s_or_b64 exec, exec, s[0:1]
	v_lshlrev_b32_e32 v29, 4, v26
	v_lshl_add_u32 v4, v28, 10, v29
	v_cmp_eq_u32_e32 vcc, 0, v28
	ds_write_b128 v4, v[0:3]
	s_waitcnt lgkmcnt(0)
	s_barrier
	s_and_saveexec_b64 s[0:1], vcc
	s_cbranch_execz .LBB4_27
; %bb.19:
	v_add_u32_e32 v6, 12, v29
	v_add_u32_e32 v4, 0x404, v29
	;; [unrolled: 1-line block ×7, first 2 shown]
	ds_read2st64_b32 v[0:1], v6 offset1:4
	ds_read2st64_b32 v[2:3], v6 offset0:8 offset1:12
	ds_read2_b32 v[10:11], v29 offset0:1 offset1:2
	ds_read2_b32 v[12:13], v4 offset1:1
	ds_read2_b32 v[14:15], v5 offset1:1
	;; [unrolled: 1-line block ×3, first 2 shown]
	ds_read2st64_b32 v[4:5], v6 offset0:16 offset1:20
	v_add_u32_e32 v9, 0x1404, v29
	ds_read2st64_b32 v[6:7], v6 offset0:24 offset1:28
	ds_read2_b32 v[18:19], v8 offset1:1
	ds_read2_b32 v[20:21], v9 offset1:1
	;; [unrolled: 1-line block ×4, first 2 shown]
	v_and_b32_e32 v8, 0xfc, v27
	v_lshl_add_u32 v27, s4, 4, v8
	s_lshl_b32 s0, s3, 4
	v_mul_lo_u32 v30, s13, v27
	v_and_or_b32 v8, v26, 15, s0
	v_ashrrev_i32_e32 v31, 31, v30
	v_lshl_add_u64 v[30:31], v[30:31], 1, s[10:11]
	v_ashrrev_i32_e32 v9, 31, v8
	v_lshl_add_u64 v[8:9], v[8:9], 1, v[30:31]
	v_cmp_gt_i32_e32 vcc, s12, v27
	s_and_saveexec_b64 s[0:1], vcc
	s_cbranch_execz .LBB4_21
; %bb.20:
	ds_read2st64_b32 v[30:31], v29 offset1:4
	ds_read2st64_b32 v[32:33], v29 offset0:8 offset1:12
	ds_read2st64_b32 v[34:35], v29 offset0:16 offset1:20
	;; [unrolled: 1-line block ×3, first 2 shown]
	s_waitcnt lgkmcnt(3)
	v_add_f32_e32 v26, 0, v30
	v_add_f32_e32 v26, v26, v31
	s_waitcnt lgkmcnt(2)
	v_add_f32_e32 v26, v26, v32
	v_add_f32_e32 v26, v26, v33
	;; [unrolled: 3-line block ×4, first 2 shown]
	v_cvt_pk_bf16_f32 v26, v26, s0
	global_store_short v[8:9], v26, off
.LBB4_21:
	s_or_b64 exec, exec, s[0:1]
	v_or_b32_e32 v26, 1, v27
	v_cmp_gt_i32_e32 vcc, s12, v26
	s_and_saveexec_b64 s[0:1], vcc
	s_cbranch_execz .LBB4_23
; %bb.22:
	s_waitcnt lgkmcnt(9)
	v_add_f32_e32 v10, 0, v10
	s_waitcnt lgkmcnt(8)
	v_add_f32_e32 v10, v10, v12
	;; [unrolled: 2-line block ×8, first 2 shown]
	s_ashr_i32 s3, s13, 31
	s_mov_b32 s2, s13
	v_cvt_pk_bf16_f32 v10, v10, s0
	v_lshl_add_u64 v[28:29], s[2:3], 1, v[8:9]
	global_store_short v[28:29], v10, off
.LBB4_23:
	s_or_b64 exec, exec, s[0:1]
	s_waitcnt lgkmcnt(9)
	v_or_b32_e32 v10, 2, v27
	v_cmp_gt_i32_e32 vcc, s12, v10
	s_and_saveexec_b64 s[0:1], vcc
	s_cbranch_execz .LBB4_25
; %bb.24:
	v_add_f32_e32 v10, 0, v11
	s_waitcnt lgkmcnt(8)
	v_add_f32_e32 v10, v10, v13
	s_waitcnt lgkmcnt(7)
	;; [unrolled: 2-line block ×6, first 2 shown]
	v_add_f32_e32 v10, v10, v23
	s_lshl_b32 s2, s13, 1
	s_waitcnt lgkmcnt(0)
	v_add_f32_e32 v10, v10, v25
	s_ashr_i32 s3, s2, 31
	v_cvt_pk_bf16_f32 v12, v10, s0
	v_lshl_add_u64 v[10:11], s[2:3], 1, v[8:9]
	global_store_short v[10:11], v12, off
.LBB4_25:
	s_or_b64 exec, exec, s[0:1]
	v_or_b32_e32 v10, 3, v27
	v_cmp_gt_i32_e32 vcc, s12, v10
	s_and_b64 exec, exec, vcc
	s_cbranch_execz .LBB4_27
; %bb.26:
	v_add_f32_e32 v0, 0, v0
	v_add_f32_e32 v0, v0, v1
	;; [unrolled: 1-line block ×4, first 2 shown]
	s_waitcnt lgkmcnt(5)
	v_add_f32_e32 v0, v0, v4
	v_add_f32_e32 v0, v0, v5
	s_waitcnt lgkmcnt(4)
	v_add_f32_e32 v0, v0, v6
	v_add_f32_e32 v0, v0, v7
	v_cvt_pk_bf16_f32 v2, v0, s0
	s_mul_i32 s0, s13, 3
	s_ashr_i32 s1, s0, 31
	v_lshl_add_u64 v[0:1], s[0:1], 1, v[8:9]
	global_store_short v[0:1], v2, off
.LBB4_27:
	s_endpgm
	.section	.rodata,"a",@progbits
	.p2align	6, 0x0
	.amdhsa_kernel _ZN2at6native30tinygemm_m16n8k16_chunk_kernelINS0_10ALayout_RMILNS0_14KReductionTypeE0EEENS0_15BLayout_TC_int4ILi4ELi64EEES4_Li8ELi8EEEvPKvS8_S8_Pviiiiii
		.amdhsa_group_segment_fixed_size 8192
		.amdhsa_private_segment_fixed_size 0
		.amdhsa_kernarg_size 56
		.amdhsa_user_sgpr_count 2
		.amdhsa_user_sgpr_dispatch_ptr 0
		.amdhsa_user_sgpr_queue_ptr 0
		.amdhsa_user_sgpr_kernarg_segment_ptr 1
		.amdhsa_user_sgpr_dispatch_id 0
		.amdhsa_user_sgpr_kernarg_preload_length 0
		.amdhsa_user_sgpr_kernarg_preload_offset 0
		.amdhsa_user_sgpr_private_segment_size 0
		.amdhsa_uses_dynamic_stack 0
		.amdhsa_enable_private_segment 0
		.amdhsa_system_sgpr_workgroup_id_x 1
		.amdhsa_system_sgpr_workgroup_id_y 1
		.amdhsa_system_sgpr_workgroup_id_z 1
		.amdhsa_system_sgpr_workgroup_info 0
		.amdhsa_system_vgpr_workitem_id 1
		.amdhsa_next_free_vgpr 66
		.amdhsa_next_free_sgpr 28
		.amdhsa_accum_offset 68
		.amdhsa_reserve_vcc 1
		.amdhsa_float_round_mode_32 0
		.amdhsa_float_round_mode_16_64 0
		.amdhsa_float_denorm_mode_32 3
		.amdhsa_float_denorm_mode_16_64 3
		.amdhsa_dx10_clamp 1
		.amdhsa_ieee_mode 1
		.amdhsa_fp16_overflow 0
		.amdhsa_tg_split 0
		.amdhsa_exception_fp_ieee_invalid_op 0
		.amdhsa_exception_fp_denorm_src 0
		.amdhsa_exception_fp_ieee_div_zero 0
		.amdhsa_exception_fp_ieee_overflow 0
		.amdhsa_exception_fp_ieee_underflow 0
		.amdhsa_exception_fp_ieee_inexact 0
		.amdhsa_exception_int_div_zero 0
	.end_amdhsa_kernel
	.section	.text._ZN2at6native30tinygemm_m16n8k16_chunk_kernelINS0_10ALayout_RMILNS0_14KReductionTypeE0EEENS0_15BLayout_TC_int4ILi4ELi64EEES4_Li8ELi8EEEvPKvS8_S8_Pviiiiii,"axG",@progbits,_ZN2at6native30tinygemm_m16n8k16_chunk_kernelINS0_10ALayout_RMILNS0_14KReductionTypeE0EEENS0_15BLayout_TC_int4ILi4ELi64EEES4_Li8ELi8EEEvPKvS8_S8_Pviiiiii,comdat
.Lfunc_end4:
	.size	_ZN2at6native30tinygemm_m16n8k16_chunk_kernelINS0_10ALayout_RMILNS0_14KReductionTypeE0EEENS0_15BLayout_TC_int4ILi4ELi64EEES4_Li8ELi8EEEvPKvS8_S8_Pviiiiii, .Lfunc_end4-_ZN2at6native30tinygemm_m16n8k16_chunk_kernelINS0_10ALayout_RMILNS0_14KReductionTypeE0EEENS0_15BLayout_TC_int4ILi4ELi64EEES4_Li8ELi8EEEvPKvS8_S8_Pviiiiii
                                        ; -- End function
	.set _ZN2at6native30tinygemm_m16n8k16_chunk_kernelINS0_10ALayout_RMILNS0_14KReductionTypeE0EEENS0_15BLayout_TC_int4ILi4ELi64EEES4_Li8ELi8EEEvPKvS8_S8_Pviiiiii.num_vgpr, 66
	.set _ZN2at6native30tinygemm_m16n8k16_chunk_kernelINS0_10ALayout_RMILNS0_14KReductionTypeE0EEENS0_15BLayout_TC_int4ILi4ELi64EEES4_Li8ELi8EEEvPKvS8_S8_Pviiiiii.num_agpr, 0
	.set _ZN2at6native30tinygemm_m16n8k16_chunk_kernelINS0_10ALayout_RMILNS0_14KReductionTypeE0EEENS0_15BLayout_TC_int4ILi4ELi64EEES4_Li8ELi8EEEvPKvS8_S8_Pviiiiii.numbered_sgpr, 28
	.set _ZN2at6native30tinygemm_m16n8k16_chunk_kernelINS0_10ALayout_RMILNS0_14KReductionTypeE0EEENS0_15BLayout_TC_int4ILi4ELi64EEES4_Li8ELi8EEEvPKvS8_S8_Pviiiiii.num_named_barrier, 0
	.set _ZN2at6native30tinygemm_m16n8k16_chunk_kernelINS0_10ALayout_RMILNS0_14KReductionTypeE0EEENS0_15BLayout_TC_int4ILi4ELi64EEES4_Li8ELi8EEEvPKvS8_S8_Pviiiiii.private_seg_size, 0
	.set _ZN2at6native30tinygemm_m16n8k16_chunk_kernelINS0_10ALayout_RMILNS0_14KReductionTypeE0EEENS0_15BLayout_TC_int4ILi4ELi64EEES4_Li8ELi8EEEvPKvS8_S8_Pviiiiii.uses_vcc, 1
	.set _ZN2at6native30tinygemm_m16n8k16_chunk_kernelINS0_10ALayout_RMILNS0_14KReductionTypeE0EEENS0_15BLayout_TC_int4ILi4ELi64EEES4_Li8ELi8EEEvPKvS8_S8_Pviiiiii.uses_flat_scratch, 0
	.set _ZN2at6native30tinygemm_m16n8k16_chunk_kernelINS0_10ALayout_RMILNS0_14KReductionTypeE0EEENS0_15BLayout_TC_int4ILi4ELi64EEES4_Li8ELi8EEEvPKvS8_S8_Pviiiiii.has_dyn_sized_stack, 0
	.set _ZN2at6native30tinygemm_m16n8k16_chunk_kernelINS0_10ALayout_RMILNS0_14KReductionTypeE0EEENS0_15BLayout_TC_int4ILi4ELi64EEES4_Li8ELi8EEEvPKvS8_S8_Pviiiiii.has_recursion, 0
	.set _ZN2at6native30tinygemm_m16n8k16_chunk_kernelINS0_10ALayout_RMILNS0_14KReductionTypeE0EEENS0_15BLayout_TC_int4ILi4ELi64EEES4_Li8ELi8EEEvPKvS8_S8_Pviiiiii.has_indirect_call, 0
	.section	.AMDGPU.csdata,"",@progbits
; Kernel info:
; codeLenInByte = 4604
; TotalNumSgprs: 34
; NumVgprs: 66
; NumAgprs: 0
; TotalNumVgprs: 66
; ScratchSize: 0
; MemoryBound: 0
; FloatMode: 240
; IeeeMode: 1
; LDSByteSize: 8192 bytes/workgroup (compile time only)
; SGPRBlocks: 4
; VGPRBlocks: 8
; NumSGPRsForWavesPerEU: 34
; NumVGPRsForWavesPerEU: 66
; AccumOffset: 68
; Occupancy: 7
; WaveLimiterHint : 1
; COMPUTE_PGM_RSRC2:SCRATCH_EN: 0
; COMPUTE_PGM_RSRC2:USER_SGPR: 2
; COMPUTE_PGM_RSRC2:TRAP_HANDLER: 0
; COMPUTE_PGM_RSRC2:TGID_X_EN: 1
; COMPUTE_PGM_RSRC2:TGID_Y_EN: 1
; COMPUTE_PGM_RSRC2:TGID_Z_EN: 1
; COMPUTE_PGM_RSRC2:TIDIG_COMP_CNT: 1
; COMPUTE_PGM_RSRC3_GFX90A:ACCUM_OFFSET: 16
; COMPUTE_PGM_RSRC3_GFX90A:TG_SPLIT: 0
	.section	.text._ZN2at6native30tinygemm_m16n8k16_chunk_kernelINS0_10ALayout_RMILNS0_14KReductionTypeE0EEENS0_15BLayout_TC_int4ILi8ELi64EEES4_Li8ELi8EEEvPKvS8_S8_Pviiiiii,"axG",@progbits,_ZN2at6native30tinygemm_m16n8k16_chunk_kernelINS0_10ALayout_RMILNS0_14KReductionTypeE0EEENS0_15BLayout_TC_int4ILi8ELi64EEES4_Li8ELi8EEEvPKvS8_S8_Pviiiiii,comdat
	.protected	_ZN2at6native30tinygemm_m16n8k16_chunk_kernelINS0_10ALayout_RMILNS0_14KReductionTypeE0EEENS0_15BLayout_TC_int4ILi8ELi64EEES4_Li8ELi8EEEvPKvS8_S8_Pviiiiii ; -- Begin function _ZN2at6native30tinygemm_m16n8k16_chunk_kernelINS0_10ALayout_RMILNS0_14KReductionTypeE0EEENS0_15BLayout_TC_int4ILi8ELi64EEES4_Li8ELi8EEEvPKvS8_S8_Pviiiiii
	.globl	_ZN2at6native30tinygemm_m16n8k16_chunk_kernelINS0_10ALayout_RMILNS0_14KReductionTypeE0EEENS0_15BLayout_TC_int4ILi8ELi64EEES4_Li8ELi8EEEvPKvS8_S8_Pviiiiii
	.p2align	8
	.type	_ZN2at6native30tinygemm_m16n8k16_chunk_kernelINS0_10ALayout_RMILNS0_14KReductionTypeE0EEENS0_15BLayout_TC_int4ILi8ELi64EEES4_Li8ELi8EEEvPKvS8_S8_Pviiiiii,@function
_ZN2at6native30tinygemm_m16n8k16_chunk_kernelINS0_10ALayout_RMILNS0_14KReductionTypeE0EEENS0_15BLayout_TC_int4ILi8ELi64EEES4_Li8ELi8EEEvPKvS8_S8_Pviiiiii: ; @_ZN2at6native30tinygemm_m16n8k16_chunk_kernelINS0_10ALayout_RMILNS0_14KReductionTypeE0EEENS0_15BLayout_TC_int4ILi8ELi64EEES4_Li8ELi8EEEvPKvS8_S8_Pviiiiii
; %bb.0:
	s_load_dwordx2 s[6:7], s[0:1], 0x30
	s_load_dwordx4 s[16:19], s[0:1], 0x0
	s_load_dwordx8 s[8:15], s[0:1], 0x10
	v_bfe_u32 v30, v0, 10, 10
	v_lshlrev_b32_e32 v33, 3, v30
	s_waitcnt lgkmcnt(0)
	s_ashr_i32 s0, s7, 31
	s_lshr_b32 s0, s0, 29
	s_add_i32 s0, s7, s0
	v_and_b32_e32 v28, 0x3ff, v0
	s_ashr_i32 s5, s0, 3
	s_and_b32 s15, s0, -8
	v_lshl_add_u32 v34, s2, 6, v33
	v_mov_b32_e32 v0, 0
	v_cmp_gt_i32_e32 vcc, s15, v34
	v_mov_b32_e32 v1, v0
	v_mov_b32_e32 v2, v0
	v_mov_b32_e32 v3, v0
	s_mul_i32 s5, s5, s3
	v_and_b32_e32 v31, 15, v28
	v_lshrrev_b32_e32 v29, 2, v28
	v_lshlrev_b32_e32 v32, 2, v28
	s_and_saveexec_b64 s[20:21], vcc
	s_cbranch_execz .LBB5_12
; %bb.1:
	v_lshl_or_b32 v1, s4, 4, v31
	v_mul_lo_u32 v2, s14, v1
	v_and_b32_e32 v4, 0xfc, v29
	v_ashrrev_i32_e32 v3, 31, v2
	v_cmp_gt_i32_e32 vcc, s12, v1
	s_lshl_b32 s22, s6, 5
	s_lshl_b32 s0, s2, 10
	v_lshlrev_b32_e32 v1, 7, v30
	v_lshl_add_u64 v[8:9], v[2:3], 1, s[16:17]
	v_lshl_or_b32 v35, s3, 4, v31
	s_lshl_b32 s26, s6, 4
	s_ashr_i32 s23, s22, 31
	v_add3_u32 v10, s0, v1, v4
	s_mov_b64 s[24:25], 0
	v_mov_b32_e32 v36, 0xf000f
	v_mov_b32_e32 v37, 0x43004300
	s_mov_b32 s2, 0x5040100
	v_mov_b32_e32 v1, v0
	v_mov_b32_e32 v2, v0
	v_mov_b32_e32 v3, v0
	s_branch .LBB5_3
.LBB5_2:                                ;   in Loop: Header=BB5_3 Depth=1
	s_or_b64 exec, exec, s[0:1]
	v_lshrrev_b32_e32 v4, 3, v34
	v_add_u32_e32 v4, s5, v4
	v_lshl_add_u32 v4, v4, 8, v32
	v_ashrrev_i32_e32 v5, 31, v4
	v_lshl_add_u64 v[4:5], v[4:5], 2, s[18:19]
	global_load_dwordx4 v[4:7], v[4:5], off
	v_ashrrev_i32_e32 v11, 2, v34
	v_mul_lo_u32 v11, s26, v11
	v_add_lshl_u32 v38, v35, v11, 1
	v_ashrrev_i32_e32 v39, 31, v38
	v_lshl_add_u64 v[38:39], v[38:39], 1, s[8:9]
	global_load_dword v11, v[38:39], off
	v_lshl_add_u64 v[38:39], s[22:23], 1, v[38:39]
	global_load_dword v40, v[38:39], off
	s_waitcnt vmcnt(2)
	;;#ASMSTART
	v_and_or_b32 v38, v4, v36, v37
	;;#ASMEND
	v_add_u32_e32 v34, 64, v34
	v_and_b32_e32 v52, 0xffff0000, v38
	v_lshlrev_b32_e32 v38, 16, v38
	v_add_f32_e32 v52, 0xc3080000, v52
	v_add_f32_e32 v38, 0xc3080000, v38
	v_cvt_pk_bf16_f32 v52, v52, s0
	v_cvt_pk_bf16_f32 v38, v38, s0
	v_lshlrev_b32_e32 v38, 16, v38
	v_lshlrev_b32_e32 v52, 16, v52
	v_add_u32_e32 v10, 0x400, v10
	v_lshrrev_b32_e32 v39, 4, v4
	v_lshrrev_b32_e32 v41, 8, v4
	;; [unrolled: 1-line block ×6, first 2 shown]
	;;#ASMSTART
	v_and_or_b32 v39, v39, v36, v37
	;;#ASMEND
	;;#ASMSTART
	v_and_or_b32 v41, v41, v36, v37
	;;#ASMEND
	;; [unrolled: 3-line block ×7, first 2 shown]
	s_nop 0
	v_and_b32_e32 v53, 0xffff0000, v39
	v_and_b32_e32 v54, 0xffff0000, v41
	;; [unrolled: 1-line block ×3, first 2 shown]
	v_lshlrev_b32_e32 v4, 16, v4
	v_lshlrev_b32_e32 v39, 16, v39
	;; [unrolled: 1-line block ×3, first 2 shown]
	v_and_b32_e32 v56, 0xffff0000, v5
	v_lshlrev_b32_e32 v5, 16, v5
	v_and_b32_e32 v57, 0xffff0000, v43
	v_lshlrev_b32_e32 v43, 16, v43
	v_and_b32_e32 v58, 0xffff0000, v44
	v_add_f32_e32 v53, 0xc3080000, v53
	v_add_f32_e32 v54, 0xc3080000, v54
	;; [unrolled: 1-line block ×3, first 2 shown]
	v_lshlrev_b32_e32 v44, 16, v44
	v_and_b32_e32 v59, 0xffff0000, v45
	v_lshlrev_b32_e32 v45, 16, v45
	v_add_f32_e32 v39, 0xc3080000, v39
	v_add_f32_e32 v41, 0xc3080000, v41
	;; [unrolled: 1-line block ×8, first 2 shown]
	v_cvt_pk_bf16_f32 v53, v53, s0
	v_cvt_pk_bf16_f32 v54, v54, s0
	;; [unrolled: 1-line block ×3, first 2 shown]
	v_add_f32_e32 v44, 0xc3080000, v44
	v_add_f32_e32 v59, 0xc3080000, v59
	;; [unrolled: 1-line block ×3, first 2 shown]
	s_waitcnt vmcnt(1)
	v_and_b32_e32 v42, 0xffff0000, v11
	v_lshlrev_b32_e32 v11, 16, v11
	v_cvt_pk_bf16_f32 v39, v39, s0
	v_cvt_pk_bf16_f32 v41, v41, s0
	;; [unrolled: 1-line block ×8, first 2 shown]
	v_lshlrev_b32_e32 v53, 16, v53
	v_lshlrev_b32_e32 v54, 16, v54
	;; [unrolled: 1-line block ×3, first 2 shown]
	v_cvt_pk_bf16_f32 v44, v44, s0
	v_cvt_pk_bf16_f32 v59, v59, s0
	;; [unrolled: 1-line block ×3, first 2 shown]
	v_fma_f32 v38, v38, v11, v42
	v_fma_f32 v52, v52, v11, v42
	v_lshlrev_b32_e32 v39, 16, v39
	v_lshlrev_b32_e32 v41, 16, v41
	;; [unrolled: 1-line block ×3, first 2 shown]
	v_fma_f32 v53, v53, v11, v42
	v_fma_f32 v54, v54, v11, v42
	;; [unrolled: 1-line block ×3, first 2 shown]
	v_lshlrev_b32_e32 v5, 16, v5
	v_lshlrev_b32_e32 v56, 16, v56
	;; [unrolled: 1-line block ×8, first 2 shown]
	v_lshrrev_b32_e32 v46, 4, v6
	v_lshrrev_b32_e32 v47, 8, v6
	;; [unrolled: 1-line block ×3, first 2 shown]
	;;#ASMSTART
	v_and_or_b32 v6, v6, v36, v37
	;;#ASMEND
	v_fma_f32 v39, v39, v11, v42
	v_fma_f32 v41, v41, v11, v42
	v_fma_f32 v55, v55, v11, v42
	v_fma_f32 v5, v5, v11, v42
	v_fma_f32 v56, v56, v11, v42
	v_fma_f32 v43, v43, v11, v42
	v_fma_f32 v57, v57, v11, v42
	v_fma_f32 v44, v44, v11, v42
	v_fma_f32 v58, v58, v11, v42
	v_fma_f32 v45, v45, v11, v42
	v_fmac_f32_e32 v42, v59, v11
	v_cvt_pk_bf16_f32 v11, v38, s0
	v_cvt_pk_bf16_f32 v38, v52, s0
	;; [unrolled: 1-line block ×5, first 2 shown]
	v_and_b32_e32 v4, 0xffff0000, v6
	v_add_f32_e32 v4, 0xc3080000, v4
	v_cvt_pk_bf16_f32 v60, v42, s0
	v_cvt_pk_bf16_f32 v42, v4, s0
	v_lshlrev_b32_e32 v4, 16, v6
	v_add_f32_e32 v4, 0xc3080000, v4
	;;#ASMSTART
	v_and_or_b32 v46, v46, v36, v37
	;;#ASMEND
	v_cvt_pk_bf16_f32 v6, v4, s0
	v_perm_b32 v4, v38, v11, s2
	v_lshlrev_b32_e32 v38, 16, v46
	v_add_f32_e32 v38, 0xc3080000, v38
	;;#ASMSTART
	v_and_or_b32 v47, v47, v36, v37
	;;#ASMEND
	v_and_b32_e32 v11, 0xffff0000, v46
	v_cvt_pk_bf16_f32 v46, v38, s0
	v_and_b32_e32 v38, 0xffff0000, v47
	v_cvt_pk_bf16_f32 v39, v39, s0
	v_add_f32_e32 v38, 0xc3080000, v38
	v_cvt_pk_bf16_f32 v59, v5, s0
	v_perm_b32 v5, v52, v39, s2
	v_cvt_pk_bf16_f32 v52, v38, s0
	v_lshlrev_b32_e32 v38, 16, v47
	v_cvt_pk_bf16_f32 v41, v41, s0
	v_cvt_pk_bf16_f32 v55, v55, s0
	v_add_f32_e32 v38, 0xc3080000, v38
	v_cvt_pk_bf16_f32 v47, v38, s0
	v_perm_b32 v38, v53, v41, s2
	v_perm_b32 v39, v55, v54, s2
	v_lshlrev_b32_e32 v6, 16, v6
	s_waitcnt vmcnt(0)
	v_and_b32_e32 v53, 0xffff0000, v40
	v_lshlrev_b32_e32 v54, 16, v40
	v_fma_f32 v6, v6, v54, v53
	v_cvt_pk_bf16_f32 v55, v6, s0
	v_lshlrev_b32_e32 v6, 16, v42
	v_fma_f32 v6, v6, v54, v53
	v_add_f32_e32 v11, 0xc3080000, v11
	v_cvt_pk_bf16_f32 v61, v6, s0
	v_lshlrev_b32_e32 v6, 16, v46
	v_cvt_pk_bf16_f32 v11, v11, s0
	v_fma_f32 v6, v6, v54, v53
	v_cvt_pk_bf16_f32 v46, v6, s0
	v_lshlrev_b32_e32 v6, 16, v11
	v_fma_f32 v6, v6, v54, v53
	;;#ASMSTART
	v_and_or_b32 v48, v48, v36, v37
	;;#ASMEND
	v_cvt_pk_bf16_f32 v11, v6, s0
	v_lshlrev_b32_e32 v6, 16, v47
	v_and_b32_e32 v41, 0xffff0000, v48
	v_lshlrev_b32_e32 v48, 16, v48
	v_fma_f32 v6, v6, v54, v53
	v_add_f32_e32 v48, 0xc3080000, v48
	v_cvt_pk_bf16_f32 v62, v6, s0
	v_lshlrev_b32_e32 v6, 16, v52
	v_cvt_pk_bf16_f32 v48, v48, s0
	v_fma_f32 v6, v6, v54, v53
	v_add_f32_e32 v41, 0xc3080000, v41
	v_cvt_pk_bf16_f32 v52, v6, s0
	v_lshlrev_b32_e32 v6, 16, v48
	v_cvt_pk_bf16_f32 v41, v41, s0
	v_fma_f32 v6, v6, v54, v53
	v_cvt_pk_bf16_f32 v63, v6, s0
	v_lshlrev_b32_e32 v6, 16, v41
	v_lshrrev_b32_e32 v49, 4, v7
	v_lshrrev_b32_e32 v50, 8, v7
	;; [unrolled: 1-line block ×3, first 2 shown]
	;;#ASMSTART
	v_and_or_b32 v7, v7, v36, v37
	;;#ASMEND
	v_fma_f32 v6, v6, v54, v53
	v_and_b32_e32 v42, 0xffff0000, v7
	v_cvt_pk_bf16_f32 v64, v6, s0
	;;#ASMSTART
	v_and_or_b32 v6, v49, v36, v37
	;;#ASMEND
	v_add_f32_e32 v42, 0xc3080000, v42
	v_lshlrev_b32_e32 v7, 16, v7
	v_cvt_pk_bf16_f32 v49, v42, s0
	v_add_f32_e32 v7, 0xc3080000, v7
	v_and_b32_e32 v42, 0xffff0000, v6
	v_lshlrev_b32_e32 v6, 16, v6
	v_cvt_pk_bf16_f32 v7, v7, s0
	v_add_f32_e32 v6, 0xc3080000, v6
	v_cvt_pk_bf16_f32 v43, v43, s0
	v_cvt_pk_bf16_f32 v57, v57, s0
	;; [unrolled: 1-line block ×5, first 2 shown]
	;;#ASMSTART
	v_and_or_b32 v47, v50, v36, v37
	;;#ASMEND
	v_add_f32_e32 v42, 0xc3080000, v42
	v_cvt_pk_bf16_f32 v6, v6, s0
	v_lshlrev_b32_e32 v7, 16, v7
	v_cvt_pk_bf16_f32 v56, v56, s0
	;;#ASMSTART
	v_and_or_b32 v48, v51, v36, v37
	;;#ASMEND
	v_perm_b32 v41, v57, v43, s2
	v_cvt_pk_bf16_f32 v50, v42, s0
	v_perm_b32 v42, v58, v44, s2
	v_perm_b32 v43, v60, v45, s2
	v_and_b32_e32 v44, 0xffff0000, v47
	v_lshlrev_b32_e32 v45, 16, v47
	v_and_b32_e32 v47, 0xffff0000, v48
	v_fma_f32 v7, v7, v54, v53
	v_lshlrev_b32_e32 v6, 16, v6
	v_perm_b32 v40, v56, v59, s2
	v_add_f32_e32 v45, 0xc3080000, v45
	v_add_f32_e32 v47, 0xc3080000, v47
	v_cvt_pk_bf16_f32 v56, v7, s0
	v_lshlrev_b32_e32 v7, 16, v49
	v_fma_f32 v6, v6, v54, v53
	v_add_f32_e32 v44, 0xc3080000, v44
	v_cvt_pk_bf16_f32 v45, v45, s0
	v_cvt_pk_bf16_f32 v51, v47, s0
	v_lshlrev_b32_e32 v47, 16, v48
	v_fma_f32 v7, v7, v54, v53
	v_cvt_pk_bf16_f32 v58, v6, s0
	v_lshlrev_b32_e32 v6, 16, v50
	v_cvt_pk_bf16_f32 v44, v44, s0
	v_add_f32_e32 v47, 0xc3080000, v47
	v_cvt_pk_bf16_f32 v57, v7, s0
	v_fma_f32 v48, v6, v54, v53
	v_mfma_f32_16x16x16_bf16 v[4:7], v[16:17], v[4:5], 0
	v_lshlrev_b32_e32 v16, 16, v45
	v_cvt_pk_bf16_f32 v47, v47, s0
	v_fma_f32 v45, v16, v54, v53
	v_mfma_f32_16x16x16_bf16 v[14:17], v[14:15], v[38:39], 0
	v_lshlrev_b32_e32 v38, 16, v44
	v_fma_f32 v44, v38, v54, v53
	v_cvt_pk_bf16_f32 v59, v45, s0
	v_mfma_f32_16x16x16_bf16 v[38:41], v[12:13], v[40:41], 0
	v_lshlrev_b32_e32 v12, 16, v47
	v_fma_f32 v12, v12, v54, v53
	v_cvt_pk_bf16_f32 v60, v44, s0
	v_mfma_f32_16x16x16_bf16 v[42:45], v[18:19], v[42:43], 0
	v_cvt_pk_bf16_f32 v65, v12, s0
	v_perm_b32 v12, v61, v55, s2
	v_perm_b32 v13, v11, v46, s2
	v_lshlrev_b32_e32 v11, 16, v51
	v_cvt_pk_bf16_f32 v50, v48, s0
	v_mfma_f32_16x16x16_bf16 v[46:49], v[24:25], v[12:13], 0
	v_perm_b32 v12, v52, v62, s2
	v_perm_b32 v13, v64, v63, s2
	v_fmac_f32_e32 v53, v11, v54
	v_pk_add_f32 v[2:3], v[2:3], v[6:7]
	v_pk_add_f32 v[0:1], v[0:1], v[4:5]
	v_mfma_f32_16x16x16_bf16 v[22:25], v[22:23], v[12:13], 0
	v_perm_b32 v12, v57, v56, s2
	v_perm_b32 v13, v50, v58, s2
	v_cvt_pk_bf16_f32 v11, v53, s0
	v_pk_add_f32 v[2:3], v[2:3], v[16:17]
	v_pk_add_f32 v[0:1], v[0:1], v[14:15]
	v_mfma_f32_16x16x16_bf16 v[18:21], v[20:21], v[12:13], 0
	v_perm_b32 v12, v60, v59, s2
	v_perm_b32 v13, v11, v65, s2
	v_pk_add_f32 v[2:3], v[2:3], v[40:41]
	v_pk_add_f32 v[0:1], v[0:1], v[38:39]
	v_mfma_f32_16x16x16_bf16 v[50:53], v[26:27], v[12:13], 0
	v_add_f32_e64 v2, v2, v44
	v_add_f32_e64 v3, v3, v45
	v_pk_add_f32 v[0:1], v[0:1], v[42:43]
	v_pk_add_f32 v[2:3], v[2:3], v[48:49]
	;; [unrolled: 1-line block ×7, first 2 shown]
	v_cmp_le_i32_e64 s[0:1], s15, v34
	v_pk_add_f32 v[2:3], v[2:3], v[52:53]
	v_pk_add_f32 v[0:1], v[0:1], v[50:51]
	s_or_b64 s[24:25], s[0:1], s[24:25]
	s_andn2_b64 exec, exec, s[24:25]
	s_cbranch_execz .LBB5_11
.LBB5_3:                                ; =>This Inner Loop Header: Depth=1
	v_ashrrev_i32_e32 v11, 31, v10
	v_lshl_add_u64 v[4:5], v[10:11], 1, v[8:9]
	v_mov_b32_e32 v12, 0
	v_mov_b32_e32 v16, 0
	v_mov_b32_e32 v17, 0
	v_mov_b32_e32 v14, 0
	v_mov_b32_e32 v15, 0
	s_and_saveexec_b64 s[0:1], vcc
	s_cbranch_execz .LBB5_5
; %bb.4:                                ;   in Loop: Header=BB5_3 Depth=1
	global_load_dwordx2 v[16:17], v[4:5], off
	global_load_dwordx2 v[14:15], v[4:5], off offset:32
.LBB5_5:                                ;   in Loop: Header=BB5_3 Depth=1
	s_or_b64 exec, exec, s[0:1]
	v_mov_b32_e32 v13, 0
	v_mov_b32_e32 v18, 0
	;; [unrolled: 1-line block ×3, first 2 shown]
	s_and_saveexec_b64 s[0:1], vcc
	s_cbranch_execz .LBB5_7
; %bb.6:                                ;   in Loop: Header=BB5_3 Depth=1
	global_load_dwordx2 v[12:13], v[4:5], off offset:64
	global_load_dwordx2 v[18:19], v[4:5], off offset:96
.LBB5_7:                                ;   in Loop: Header=BB5_3 Depth=1
	s_or_b64 exec, exec, s[0:1]
	v_mov_b32_e32 v20, 0
	v_mov_b32_e32 v24, 0
	;; [unrolled: 1-line block ×5, first 2 shown]
	s_and_saveexec_b64 s[0:1], vcc
	s_cbranch_execz .LBB5_9
; %bb.8:                                ;   in Loop: Header=BB5_3 Depth=1
	global_load_dwordx2 v[24:25], v[4:5], off offset:128
	global_load_dwordx2 v[22:23], v[4:5], off offset:160
.LBB5_9:                                ;   in Loop: Header=BB5_3 Depth=1
	s_or_b64 exec, exec, s[0:1]
	v_mov_b32_e32 v21, 0
	v_mov_b32_e32 v26, 0
	;; [unrolled: 1-line block ×3, first 2 shown]
	s_and_saveexec_b64 s[0:1], vcc
	s_cbranch_execz .LBB5_2
; %bb.10:                               ;   in Loop: Header=BB5_3 Depth=1
	global_load_dwordx2 v[20:21], v[4:5], off offset:192
	global_load_dwordx2 v[26:27], v[4:5], off offset:224
	s_branch .LBB5_2
.LBB5_11:
	s_or_b64 exec, exec, s[24:25]
.LBB5_12:
	s_or_b64 exec, exec, s[20:21]
	v_add_u32_e32 v24, s15, v33
	v_cmp_gt_u32_e32 vcc, s7, v24
	s_and_saveexec_b64 s[0:1], vcc
	s_cbranch_execz .LBB5_22
; %bb.13:
	v_lshl_or_b32 v8, s4, 4, v31
	v_and_b32_e32 v4, 0xfc, v29
	v_mul_lo_u32 v6, s14, v8
	v_lshl_add_u32 v4, v24, 4, v4
	v_ashrrev_i32_e32 v7, 31, v6
	v_lshl_add_u64 v[6:7], v[6:7], 1, s[16:17]
	v_ashrrev_i32_e32 v5, 31, v4
	v_lshl_add_u64 v[4:5], v[4:5], 1, v[6:7]
	v_cmp_gt_i32_e32 vcc, s12, v8
	v_mov_b32_e32 v8, 0
	v_mov_b32_e32 v12, 0
	;; [unrolled: 1-line block ×5, first 2 shown]
	s_and_saveexec_b64 s[14:15], vcc
	s_cbranch_execz .LBB5_15
; %bb.14:
	global_load_dwordx2 v[12:13], v[4:5], off
	global_load_dwordx2 v[10:11], v[4:5], off offset:32
.LBB5_15:
	s_or_b64 exec, exec, s[14:15]
	v_mov_b32_e32 v9, 0
	v_mov_b32_e32 v14, 0
	v_mov_b32_e32 v15, 0
	s_and_saveexec_b64 s[14:15], vcc
	s_cbranch_execz .LBB5_17
; %bb.16:
	global_load_dwordx2 v[8:9], v[4:5], off offset:64
	global_load_dwordx2 v[14:15], v[4:5], off offset:96
.LBB5_17:
	s_or_b64 exec, exec, s[14:15]
	v_mov_b32_e32 v16, 0
	v_mov_b32_e32 v20, 0
	;; [unrolled: 1-line block ×5, first 2 shown]
	s_and_saveexec_b64 s[14:15], vcc
	s_cbranch_execz .LBB5_19
; %bb.18:
	global_load_dwordx2 v[20:21], v[4:5], off offset:128
	global_load_dwordx2 v[18:19], v[4:5], off offset:160
.LBB5_19:
	s_or_b64 exec, exec, s[14:15]
	v_mov_b32_e32 v17, 0
	v_mov_b32_e32 v22, 0
	;; [unrolled: 1-line block ×3, first 2 shown]
	s_and_saveexec_b64 s[14:15], vcc
	s_cbranch_execz .LBB5_21
; %bb.20:
	global_load_dwordx2 v[16:17], v[4:5], off offset:192
	global_load_dwordx2 v[22:23], v[4:5], off offset:224
.LBB5_21:
	s_or_b64 exec, exec, s[14:15]
	v_lshrrev_b32_e32 v4, 3, v24
	v_add_u32_e32 v4, s5, v4
	v_lshl_add_u32 v4, v4, 8, v32
	v_ashrrev_i32_e32 v5, 31, v4
	v_lshl_add_u64 v[4:5], v[4:5], 2, s[18:19]
	v_lshrrev_b32_e32 v24, 2, v24
	global_load_dwordx4 v[4:7], v[4:5], off
	v_mul_lo_u32 v24, s6, v24
	v_lshl_or_b32 v25, s3, 4, v31
	v_lshlrev_b32_e32 v24, 4, v24
	v_add_lshl_u32 v24, v25, v24, 1
	v_ashrrev_i32_e32 v25, 31, v24
	v_lshl_add_u64 v[24:25], v[24:25], 1, s[8:9]
	global_load_dword v26, v[24:25], off
	s_lshl_b32 s6, s6, 5
	s_ashr_i32 s7, s6, 31
	v_lshl_add_u64 v[24:25], s[6:7], 1, v[24:25]
	global_load_dword v24, v[24:25], off
	v_mov_b32_e32 v27, 0xf000f
	v_mov_b32_e32 v31, 0x43004300
	s_waitcnt vmcnt(2)
	;;#ASMSTART
	v_and_or_b32 v25, v4, v27, v31
	;;#ASMEND
	s_mov_b32 s2, 0x5040100
	v_and_b32_e32 v37, 0xffff0000, v25
	v_lshlrev_b32_e32 v25, 16, v25
	v_add_f32_e32 v37, 0xc3080000, v37
	v_add_f32_e32 v25, 0xc3080000, v25
	v_cvt_pk_bf16_f32 v37, v37, s0
	v_cvt_pk_bf16_f32 v25, v25, s0
	v_lshlrev_b32_e32 v25, 16, v25
	v_lshlrev_b32_e32 v37, 16, v37
	v_lshrrev_b32_e32 v32, 4, v4
	v_lshrrev_b32_e32 v33, 8, v4
	;; [unrolled: 1-line block ×3, first 2 shown]
	;;#ASMSTART
	v_and_or_b32 v32, v32, v27, v31
	;;#ASMEND
	;;#ASMSTART
	v_and_or_b32 v33, v33, v27, v31
	;;#ASMEND
	;; [unrolled: 3-line block ×3, first 2 shown]
	v_lshrrev_b32_e32 v34, 4, v5
	v_and_b32_e32 v41, 0xffff0000, v4
	v_lshlrev_b32_e32 v4, 16, v4
	v_add_f32_e32 v4, 0xc3080000, v4
	v_cvt_pk_bf16_f32 v4, v4, s0
	s_waitcnt vmcnt(1)
	v_and_b32_e32 v38, 0xffff0000, v26
	v_lshlrev_b32_e32 v26, 16, v26
	v_lshlrev_b32_e32 v4, 16, v4
	v_fma_f32 v4, v4, v26, v38
	v_lshrrev_b32_e32 v35, 8, v5
	v_lshrrev_b32_e32 v36, 12, v5
	;;#ASMSTART
	v_and_or_b32 v5, v5, v27, v31
	;;#ASMEND
	;;#ASMSTART
	v_and_or_b32 v34, v34, v27, v31
	;;#ASMEND
	v_cvt_pk_bf16_f32 v44, v4, s0
	v_lshlrev_b32_e32 v4, 16, v34
	v_add_f32_e32 v4, 0xc3080000, v4
	v_and_b32_e32 v43, 0xffff0000, v34
	v_cvt_pk_bf16_f32 v4, v4, s0
	;;#ASMSTART
	v_and_or_b32 v35, v35, v27, v31
	;;#ASMEND
	v_add_f32_e32 v43, 0xc3080000, v43
	v_lshlrev_b32_e32 v4, 16, v4
	v_cvt_pk_bf16_f32 v43, v43, s0
	v_and_b32_e32 v34, 0xffff0000, v35
	v_lshlrev_b32_e32 v35, 16, v35
	v_fma_f32 v4, v4, v26, v38
	v_add_f32_e32 v35, 0xc3080000, v35
	v_cvt_pk_bf16_f32 v47, v4, s0
	v_lshlrev_b32_e32 v4, 16, v43
	v_cvt_pk_bf16_f32 v35, v35, s0
	v_fma_f32 v4, v4, v26, v38
	;;#ASMSTART
	v_and_or_b32 v36, v36, v27, v31
	;;#ASMEND
	v_add_f32_e32 v34, 0xc3080000, v34
	v_cvt_pk_bf16_f32 v43, v4, s0
	v_lshlrev_b32_e32 v4, 16, v35
	v_and_b32_e32 v42, 0xffff0000, v5
	v_lshlrev_b32_e32 v5, 16, v5
	v_cvt_pk_bf16_f32 v34, v34, s0
	v_and_b32_e32 v45, 0xffff0000, v36
	v_lshlrev_b32_e32 v36, 16, v36
	v_fma_f32 v4, v4, v26, v38
	v_add_f32_e32 v5, 0xc3080000, v5
	v_add_f32_e32 v36, 0xc3080000, v36
	v_cvt_pk_bf16_f32 v35, v4, s0
	v_lshlrev_b32_e32 v4, 16, v34
	v_and_b32_e32 v39, 0xffff0000, v32
	v_lshlrev_b32_e32 v32, 16, v32
	v_and_b32_e32 v40, 0xffff0000, v33
	v_lshlrev_b32_e32 v33, 16, v33
	v_cvt_pk_bf16_f32 v5, v5, s0
	v_cvt_pk_bf16_f32 v36, v36, s0
	v_fma_f32 v4, v4, v26, v38
	v_add_f32_e32 v39, 0xc3080000, v39
	v_add_f32_e32 v32, 0xc3080000, v32
	;; [unrolled: 1-line block ×7, first 2 shown]
	v_lshlrev_b32_e32 v5, 16, v5
	v_cvt_pk_bf16_f32 v34, v4, s0
	v_lshlrev_b32_e32 v4, 16, v36
	v_cvt_pk_bf16_f32 v39, v39, s0
	v_cvt_pk_bf16_f32 v32, v32, s0
	;; [unrolled: 1-line block ×7, first 2 shown]
	v_fma_f32 v5, v5, v26, v38
	v_fma_f32 v4, v4, v26, v38
	v_lshlrev_b32_e32 v32, 16, v32
	v_lshlrev_b32_e32 v39, 16, v39
	;; [unrolled: 1-line block ×5, first 2 shown]
	v_cvt_pk_bf16_f32 v46, v5, s0
	v_lshlrev_b32_e32 v5, 16, v42
	v_cvt_pk_bf16_f32 v36, v4, s0
	v_lshlrev_b32_e32 v4, 16, v45
	v_fma_f32 v25, v25, v26, v38
	v_fma_f32 v37, v37, v26, v38
	;; [unrolled: 1-line block ×8, first 2 shown]
	v_fmac_f32_e32 v38, v4, v26
	;;#ASMSTART
	v_and_or_b32 v4, v6, v27, v31
	;;#ASMEND
	v_cvt_pk_bf16_f32 v42, v5, s0
	v_and_b32_e32 v45, 0xffff0000, v4
	v_lshlrev_b32_e32 v4, 16, v4
	v_add_f32_e32 v4, 0xc3080000, v4
	v_lshrrev_b32_e32 v5, 4, v6
	v_cvt_pk_bf16_f32 v4, v4, s0
	;;#ASMSTART
	v_and_or_b32 v5, v5, v27, v31
	;;#ASMEND
	v_add_f32_e32 v45, 0xc3080000, v45
	v_lshlrev_b32_e32 v4, 16, v4
	s_waitcnt vmcnt(0)
	v_and_b32_e32 v51, 0xffff0000, v24
	v_lshlrev_b32_e32 v52, 16, v24
	v_cvt_pk_bf16_f32 v45, v45, s0
	v_and_b32_e32 v48, 0xffff0000, v5
	v_lshlrev_b32_e32 v5, 16, v5
	v_fma_f32 v4, v4, v52, v51
	v_add_f32_e32 v5, 0xc3080000, v5
	v_cvt_pk_bf16_f32 v53, v4, s0
	v_lshlrev_b32_e32 v4, 16, v45
	v_lshrrev_b32_e32 v26, 8, v6
	v_cvt_pk_bf16_f32 v5, v5, s0
	v_fma_f32 v4, v4, v52, v51
	;;#ASMSTART
	v_and_or_b32 v26, v26, v27, v31
	;;#ASMEND
	v_add_f32_e32 v48, 0xc3080000, v48
	v_cvt_pk_bf16_f32 v45, v4, s0
	v_lshlrev_b32_e32 v4, 16, v5
	v_cvt_pk_bf16_f32 v48, v48, s0
	v_and_b32_e32 v49, 0xffff0000, v26
	v_lshlrev_b32_e32 v26, 16, v26
	v_fma_f32 v4, v4, v52, v51
	v_add_f32_e32 v26, 0xc3080000, v26
	v_cvt_pk_bf16_f32 v54, v4, s0
	v_lshlrev_b32_e32 v4, 16, v48
	v_lshrrev_b32_e32 v6, 12, v6
	v_cvt_pk_bf16_f32 v26, v26, s0
	v_fma_f32 v4, v4, v52, v51
	;;#ASMSTART
	v_and_or_b32 v6, v6, v27, v31
	;;#ASMEND
	v_add_f32_e32 v49, 0xc3080000, v49
	v_cvt_pk_bf16_f32 v48, v4, s0
	v_lshlrev_b32_e32 v4, 16, v26
	v_cvt_pk_bf16_f32 v49, v49, s0
	v_and_b32_e32 v50, 0xffff0000, v6
	v_lshlrev_b32_e32 v6, 16, v6
	v_fma_f32 v4, v4, v52, v51
	v_add_f32_e32 v6, 0xc3080000, v6
	v_cvt_pk_bf16_f32 v55, v4, s0
	v_lshlrev_b32_e32 v4, 16, v49
	v_cvt_pk_bf16_f32 v6, v6, s0
	v_fma_f32 v4, v4, v52, v51
	v_add_f32_e32 v50, 0xc3080000, v50
	v_cvt_pk_bf16_f32 v49, v4, s0
	v_lshlrev_b32_e32 v4, 16, v6
	v_cvt_pk_bf16_f32 v50, v50, s0
	v_fma_f32 v4, v4, v52, v51
	v_cvt_pk_bf16_f32 v56, v4, s0
	v_lshlrev_b32_e32 v4, 16, v50
	v_fma_f32 v4, v4, v52, v51
	v_cvt_pk_bf16_f32 v50, v4, s0
	;;#ASMSTART
	v_and_or_b32 v4, v7, v27, v31
	;;#ASMEND
	v_lshrrev_b32_e32 v5, 4, v7
	v_and_b32_e32 v24, 0xffff0000, v4
	v_lshlrev_b32_e32 v4, 16, v4
	v_add_f32_e32 v4, 0xc3080000, v4
	v_cvt_pk_bf16_f32 v4, v4, s0
	;;#ASMSTART
	v_and_or_b32 v5, v5, v27, v31
	;;#ASMEND
	v_add_f32_e32 v24, 0xc3080000, v24
	v_lshlrev_b32_e32 v4, 16, v4
	v_cvt_pk_bf16_f32 v24, v24, s0
	v_and_b32_e32 v26, 0xffff0000, v5
	v_lshlrev_b32_e32 v5, 16, v5
	v_fma_f32 v4, v4, v52, v51
	v_add_f32_e32 v5, 0xc3080000, v5
	v_cvt_pk_bf16_f32 v58, v4, s0
	v_lshlrev_b32_e32 v4, 16, v24
	v_lshrrev_b32_e32 v6, 8, v7
	v_cvt_pk_bf16_f32 v5, v5, s0
	v_fma_f32 v4, v4, v52, v51
	;;#ASMSTART
	v_and_or_b32 v6, v6, v27, v31
	;;#ASMEND
	v_lshrrev_b32_e32 v7, 12, v7
	v_add_f32_e32 v26, 0xc3080000, v26
	v_cvt_pk_bf16_f32 v59, v4, s0
	v_lshlrev_b32_e32 v4, 16, v5
	;;#ASMSTART
	v_and_or_b32 v7, v7, v27, v31
	;;#ASMEND
	v_cvt_pk_bf16_f32 v26, v26, s0
	v_and_b32_e32 v27, 0xffff0000, v6
	v_lshlrev_b32_e32 v6, 16, v6
	v_fma_f32 v4, v4, v52, v51
	v_add_f32_e32 v6, 0xc3080000, v6
	v_cvt_pk_bf16_f32 v60, v4, s0
	v_lshlrev_b32_e32 v4, 16, v26
	v_cvt_pk_bf16_f32 v6, v6, s0
	v_fma_f32 v4, v4, v52, v51
	v_add_f32_e32 v27, 0xc3080000, v27
	v_cvt_pk_bf16_f32 v61, v4, s0
	v_lshlrev_b32_e32 v4, 16, v6
	v_cvt_pk_bf16_f32 v27, v27, s0
	v_fma_f32 v4, v4, v52, v51
	v_cvt_pk_bf16_f32 v25, v25, s0
	v_cvt_pk_bf16_f32 v37, v37, s0
	;; [unrolled: 1-line block ×4, first 2 shown]
	v_and_b32_e32 v31, 0xffff0000, v7
	v_lshlrev_b32_e32 v7, 16, v7
	v_cvt_pk_bf16_f32 v62, v4, s0
	v_lshlrev_b32_e32 v4, 16, v27
	v_cvt_pk_bf16_f32 v33, v33, s0
	v_cvt_pk_bf16_f32 v40, v40, s0
	;; [unrolled: 1-line block ×3, first 2 shown]
	v_add_f32_e32 v7, 0xc3080000, v7
	v_fma_f32 v24, v4, v52, v51
	v_perm_b32 v4, v37, v25, s2
	v_perm_b32 v5, v39, v32, s2
	v_cvt_pk_bf16_f32 v38, v38, s0
	v_cvt_pk_bf16_f32 v57, v7, s0
	v_mfma_f32_16x16x16_bf16 v[4:7], v[12:13], v[4:5], 0
	v_cvt_pk_bf16_f32 v63, v24, s0
	v_perm_b32 v12, v40, v33, s2
	v_perm_b32 v13, v41, v44, s2
	;; [unrolled: 1-line block ×4, first 2 shown]
	v_add_f32_e32 v31, 0xc3080000, v31
	v_mfma_f32_16x16x16_bf16 v[10:13], v[10:11], v[12:13], 0
	v_lshlrev_b32_e32 v32, 16, v57
	v_cvt_pk_bf16_f32 v31, v31, s0
	v_fma_f32 v37, v32, v52, v51
	v_mfma_f32_16x16x16_bf16 v[24:27], v[8:9], v[24:25], 0
	v_perm_b32 v8, v34, v35, s2
	v_perm_b32 v9, v38, v36, s2
	v_cvt_pk_bf16_f32 v40, v37, s0
	v_pk_add_f32 v[2:3], v[2:3], v[6:7]
	v_mfma_f32_16x16x16_bf16 v[32:35], v[14:15], v[8:9], 0
	v_perm_b32 v8, v45, v53, s2
	v_perm_b32 v9, v48, v54, s2
	v_lshlrev_b32_e32 v14, 16, v31
	v_fmac_f32_e32 v51, v14, v52
	v_mfma_f32_16x16x16_bf16 v[36:39], v[20:21], v[8:9], 0
	v_perm_b32 v8, v49, v55, s2
	v_perm_b32 v9, v50, v56, s2
	v_pk_add_f32 v[0:1], v[0:1], v[4:5]
	v_pk_add_f32 v[2:3], v[2:3], v[12:13]
	v_mfma_f32_16x16x16_bf16 v[18:21], v[18:19], v[8:9], 0
	v_perm_b32 v8, v59, v58, s2
	v_perm_b32 v9, v61, v60, s2
	v_pk_add_f32 v[0:1], v[0:1], v[10:11]
	v_pk_add_f32 v[2:3], v[2:3], v[26:27]
	v_mfma_f32_16x16x16_bf16 v[14:17], v[16:17], v[8:9], 0
	v_cvt_pk_bf16_f32 v9, v51, s0
	v_perm_b32 v8, v63, v62, s2
	v_perm_b32 v9, v9, v40, s2
	v_pk_add_f32 v[0:1], v[0:1], v[24:25]
	v_pk_add_f32 v[2:3], v[2:3], v[34:35]
	v_mfma_f32_16x16x16_bf16 v[40:43], v[22:23], v[8:9], 0
	v_add_f32_e64 v0, v0, v32
	v_add_f32_e64 v1, v1, v33
	v_pk_add_f32 v[2:3], v[2:3], v[38:39]
	v_pk_add_f32 v[0:1], v[0:1], v[36:37]
	;; [unrolled: 1-line block ×8, first 2 shown]
.LBB5_22:
	s_or_b64 exec, exec, s[0:1]
	v_lshlrev_b32_e32 v27, 4, v28
	v_lshl_add_u32 v4, v30, 10, v27
	v_cmp_eq_u32_e32 vcc, 0, v30
	ds_write_b128 v4, v[0:3]
	s_waitcnt lgkmcnt(0)
	s_barrier
	s_and_saveexec_b64 s[0:1], vcc
	s_cbranch_execz .LBB5_31
; %bb.23:
	v_add_u32_e32 v6, 12, v27
	v_add_u32_e32 v4, 0x404, v27
	;; [unrolled: 1-line block ×7, first 2 shown]
	ds_read2st64_b32 v[0:1], v6 offset1:4
	ds_read2st64_b32 v[2:3], v6 offset0:8 offset1:12
	ds_read2_b32 v[10:11], v27 offset0:1 offset1:2
	ds_read2_b32 v[12:13], v4 offset1:1
	ds_read2_b32 v[14:15], v5 offset1:1
	;; [unrolled: 1-line block ×3, first 2 shown]
	ds_read2st64_b32 v[4:5], v6 offset0:16 offset1:20
	v_add_u32_e32 v9, 0x1404, v27
	ds_read2st64_b32 v[6:7], v6 offset0:24 offset1:28
	ds_read2_b32 v[18:19], v8 offset1:1
	ds_read2_b32 v[20:21], v9 offset1:1
	;; [unrolled: 1-line block ×4, first 2 shown]
	v_and_b32_e32 v8, 0xfc, v29
	v_lshl_add_u32 v26, s4, 4, v8
	s_lshl_b32 s0, s3, 4
	v_and_or_b32 v8, v28, 15, s0
	v_mul_lo_u32 v28, s13, v26
	v_ashrrev_i32_e32 v29, 31, v28
	v_lshl_add_u64 v[28:29], v[28:29], 1, s[10:11]
	v_ashrrev_i32_e32 v9, 31, v8
	v_lshl_add_u64 v[8:9], v[8:9], 1, v[28:29]
	v_cmp_gt_i32_e32 vcc, s12, v26
	s_and_saveexec_b64 s[0:1], vcc
	s_cbranch_execz .LBB5_25
; %bb.24:
	ds_read2st64_b32 v[28:29], v27 offset1:4
	ds_read2st64_b32 v[30:31], v27 offset0:8 offset1:12
	ds_read2st64_b32 v[32:33], v27 offset0:16 offset1:20
	s_waitcnt lgkmcnt(2)
	v_add_f32_e32 v28, 0, v28
	v_add_f32_e32 v34, v28, v29
	ds_read2st64_b32 v[28:29], v27 offset0:24 offset1:28
	s_waitcnt lgkmcnt(2)
	v_add_f32_e32 v27, v34, v30
	v_add_f32_e32 v27, v27, v31
	s_waitcnt lgkmcnt(1)
	v_add_f32_e32 v27, v27, v32
	v_add_f32_e32 v27, v27, v33
	;; [unrolled: 3-line block ×3, first 2 shown]
	v_cvt_pk_bf16_f32 v27, v27, s0
	global_store_short v[8:9], v27, off
.LBB5_25:
	s_or_b64 exec, exec, s[0:1]
	v_or_b32_e32 v27, 1, v26
	v_cmp_gt_i32_e32 vcc, s12, v27
	s_and_saveexec_b64 s[0:1], vcc
	s_cbranch_execz .LBB5_27
; %bb.26:
	s_waitcnt lgkmcnt(9)
	v_add_f32_e32 v10, 0, v10
	s_waitcnt lgkmcnt(8)
	v_add_f32_e32 v10, v10, v12
	;; [unrolled: 2-line block ×8, first 2 shown]
	s_ashr_i32 s3, s13, 31
	s_mov_b32 s2, s13
	v_cvt_pk_bf16_f32 v10, v10, s0
	v_lshl_add_u64 v[28:29], s[2:3], 1, v[8:9]
	global_store_short v[28:29], v10, off
.LBB5_27:
	s_or_b64 exec, exec, s[0:1]
	s_waitcnt lgkmcnt(9)
	v_or_b32_e32 v10, 2, v26
	v_cmp_gt_i32_e32 vcc, s12, v10
	s_and_saveexec_b64 s[0:1], vcc
	s_cbranch_execz .LBB5_29
; %bb.28:
	v_add_f32_e32 v10, 0, v11
	s_waitcnt lgkmcnt(8)
	v_add_f32_e32 v10, v10, v13
	s_waitcnt lgkmcnt(7)
	;; [unrolled: 2-line block ×6, first 2 shown]
	v_add_f32_e32 v10, v10, v23
	s_lshl_b32 s2, s13, 1
	s_waitcnt lgkmcnt(0)
	v_add_f32_e32 v10, v10, v25
	s_ashr_i32 s3, s2, 31
	v_cvt_pk_bf16_f32 v12, v10, s0
	v_lshl_add_u64 v[10:11], s[2:3], 1, v[8:9]
	global_store_short v[10:11], v12, off
.LBB5_29:
	s_or_b64 exec, exec, s[0:1]
	v_or_b32_e32 v10, 3, v26
	v_cmp_gt_i32_e32 vcc, s12, v10
	s_and_b64 exec, exec, vcc
	s_cbranch_execz .LBB5_31
; %bb.30:
	v_add_f32_e32 v0, 0, v0
	v_add_f32_e32 v0, v0, v1
	;; [unrolled: 1-line block ×4, first 2 shown]
	s_waitcnt lgkmcnt(5)
	v_add_f32_e32 v0, v0, v4
	v_add_f32_e32 v0, v0, v5
	s_waitcnt lgkmcnt(4)
	v_add_f32_e32 v0, v0, v6
	v_add_f32_e32 v0, v0, v7
	v_cvt_pk_bf16_f32 v2, v0, s0
	s_mul_i32 s0, s13, 3
	s_ashr_i32 s1, s0, 31
	v_lshl_add_u64 v[0:1], s[0:1], 1, v[8:9]
	global_store_short v[0:1], v2, off
.LBB5_31:
	s_endpgm
	.section	.rodata,"a",@progbits
	.p2align	6, 0x0
	.amdhsa_kernel _ZN2at6native30tinygemm_m16n8k16_chunk_kernelINS0_10ALayout_RMILNS0_14KReductionTypeE0EEENS0_15BLayout_TC_int4ILi8ELi64EEES4_Li8ELi8EEEvPKvS8_S8_Pviiiiii
		.amdhsa_group_segment_fixed_size 8192
		.amdhsa_private_segment_fixed_size 0
		.amdhsa_kernarg_size 56
		.amdhsa_user_sgpr_count 2
		.amdhsa_user_sgpr_dispatch_ptr 0
		.amdhsa_user_sgpr_queue_ptr 0
		.amdhsa_user_sgpr_kernarg_segment_ptr 1
		.amdhsa_user_sgpr_dispatch_id 0
		.amdhsa_user_sgpr_kernarg_preload_length 0
		.amdhsa_user_sgpr_kernarg_preload_offset 0
		.amdhsa_user_sgpr_private_segment_size 0
		.amdhsa_uses_dynamic_stack 0
		.amdhsa_enable_private_segment 0
		.amdhsa_system_sgpr_workgroup_id_x 1
		.amdhsa_system_sgpr_workgroup_id_y 1
		.amdhsa_system_sgpr_workgroup_id_z 1
		.amdhsa_system_sgpr_workgroup_info 0
		.amdhsa_system_vgpr_workitem_id 1
		.amdhsa_next_free_vgpr 66
		.amdhsa_next_free_sgpr 27
		.amdhsa_accum_offset 68
		.amdhsa_reserve_vcc 1
		.amdhsa_float_round_mode_32 0
		.amdhsa_float_round_mode_16_64 0
		.amdhsa_float_denorm_mode_32 3
		.amdhsa_float_denorm_mode_16_64 3
		.amdhsa_dx10_clamp 1
		.amdhsa_ieee_mode 1
		.amdhsa_fp16_overflow 0
		.amdhsa_tg_split 0
		.amdhsa_exception_fp_ieee_invalid_op 0
		.amdhsa_exception_fp_denorm_src 0
		.amdhsa_exception_fp_ieee_div_zero 0
		.amdhsa_exception_fp_ieee_overflow 0
		.amdhsa_exception_fp_ieee_underflow 0
		.amdhsa_exception_fp_ieee_inexact 0
		.amdhsa_exception_int_div_zero 0
	.end_amdhsa_kernel
	.section	.text._ZN2at6native30tinygemm_m16n8k16_chunk_kernelINS0_10ALayout_RMILNS0_14KReductionTypeE0EEENS0_15BLayout_TC_int4ILi8ELi64EEES4_Li8ELi8EEEvPKvS8_S8_Pviiiiii,"axG",@progbits,_ZN2at6native30tinygemm_m16n8k16_chunk_kernelINS0_10ALayout_RMILNS0_14KReductionTypeE0EEENS0_15BLayout_TC_int4ILi8ELi64EEES4_Li8ELi8EEEvPKvS8_S8_Pviiiiii,comdat
.Lfunc_end5:
	.size	_ZN2at6native30tinygemm_m16n8k16_chunk_kernelINS0_10ALayout_RMILNS0_14KReductionTypeE0EEENS0_15BLayout_TC_int4ILi8ELi64EEES4_Li8ELi8EEEvPKvS8_S8_Pviiiiii, .Lfunc_end5-_ZN2at6native30tinygemm_m16n8k16_chunk_kernelINS0_10ALayout_RMILNS0_14KReductionTypeE0EEENS0_15BLayout_TC_int4ILi8ELi64EEES4_Li8ELi8EEEvPKvS8_S8_Pviiiiii
                                        ; -- End function
	.set _ZN2at6native30tinygemm_m16n8k16_chunk_kernelINS0_10ALayout_RMILNS0_14KReductionTypeE0EEENS0_15BLayout_TC_int4ILi8ELi64EEES4_Li8ELi8EEEvPKvS8_S8_Pviiiiii.num_vgpr, 66
	.set _ZN2at6native30tinygemm_m16n8k16_chunk_kernelINS0_10ALayout_RMILNS0_14KReductionTypeE0EEENS0_15BLayout_TC_int4ILi8ELi64EEES4_Li8ELi8EEEvPKvS8_S8_Pviiiiii.num_agpr, 0
	.set _ZN2at6native30tinygemm_m16n8k16_chunk_kernelINS0_10ALayout_RMILNS0_14KReductionTypeE0EEENS0_15BLayout_TC_int4ILi8ELi64EEES4_Li8ELi8EEEvPKvS8_S8_Pviiiiii.numbered_sgpr, 27
	.set _ZN2at6native30tinygemm_m16n8k16_chunk_kernelINS0_10ALayout_RMILNS0_14KReductionTypeE0EEENS0_15BLayout_TC_int4ILi8ELi64EEES4_Li8ELi8EEEvPKvS8_S8_Pviiiiii.num_named_barrier, 0
	.set _ZN2at6native30tinygemm_m16n8k16_chunk_kernelINS0_10ALayout_RMILNS0_14KReductionTypeE0EEENS0_15BLayout_TC_int4ILi8ELi64EEES4_Li8ELi8EEEvPKvS8_S8_Pviiiiii.private_seg_size, 0
	.set _ZN2at6native30tinygemm_m16n8k16_chunk_kernelINS0_10ALayout_RMILNS0_14KReductionTypeE0EEENS0_15BLayout_TC_int4ILi8ELi64EEES4_Li8ELi8EEEvPKvS8_S8_Pviiiiii.uses_vcc, 1
	.set _ZN2at6native30tinygemm_m16n8k16_chunk_kernelINS0_10ALayout_RMILNS0_14KReductionTypeE0EEENS0_15BLayout_TC_int4ILi8ELi64EEES4_Li8ELi8EEEvPKvS8_S8_Pviiiiii.uses_flat_scratch, 0
	.set _ZN2at6native30tinygemm_m16n8k16_chunk_kernelINS0_10ALayout_RMILNS0_14KReductionTypeE0EEENS0_15BLayout_TC_int4ILi8ELi64EEES4_Li8ELi8EEEvPKvS8_S8_Pviiiiii.has_dyn_sized_stack, 0
	.set _ZN2at6native30tinygemm_m16n8k16_chunk_kernelINS0_10ALayout_RMILNS0_14KReductionTypeE0EEENS0_15BLayout_TC_int4ILi8ELi64EEES4_Li8ELi8EEEvPKvS8_S8_Pviiiiii.has_recursion, 0
	.set _ZN2at6native30tinygemm_m16n8k16_chunk_kernelINS0_10ALayout_RMILNS0_14KReductionTypeE0EEENS0_15BLayout_TC_int4ILi8ELi64EEES4_Li8ELi8EEEvPKvS8_S8_Pviiiiii.has_indirect_call, 0
	.section	.AMDGPU.csdata,"",@progbits
; Kernel info:
; codeLenInByte = 5660
; TotalNumSgprs: 33
; NumVgprs: 66
; NumAgprs: 0
; TotalNumVgprs: 66
; ScratchSize: 0
; MemoryBound: 0
; FloatMode: 240
; IeeeMode: 1
; LDSByteSize: 8192 bytes/workgroup (compile time only)
; SGPRBlocks: 4
; VGPRBlocks: 8
; NumSGPRsForWavesPerEU: 33
; NumVGPRsForWavesPerEU: 66
; AccumOffset: 68
; Occupancy: 7
; WaveLimiterHint : 0
; COMPUTE_PGM_RSRC2:SCRATCH_EN: 0
; COMPUTE_PGM_RSRC2:USER_SGPR: 2
; COMPUTE_PGM_RSRC2:TRAP_HANDLER: 0
; COMPUTE_PGM_RSRC2:TGID_X_EN: 1
; COMPUTE_PGM_RSRC2:TGID_Y_EN: 1
; COMPUTE_PGM_RSRC2:TGID_Z_EN: 1
; COMPUTE_PGM_RSRC2:TIDIG_COMP_CNT: 1
; COMPUTE_PGM_RSRC3_GFX90A:ACCUM_OFFSET: 16
; COMPUTE_PGM_RSRC3_GFX90A:TG_SPLIT: 0
	.section	.text._ZN2at6native30tinygemm_m16n8k16_chunk_kernelINS0_10ALayout_RMILNS0_14KReductionTypeE0EEENS0_15BLayout_TC_int4ILi2ELi128EEES4_Li8ELi8EEEvPKvS8_S8_Pviiiiii,"axG",@progbits,_ZN2at6native30tinygemm_m16n8k16_chunk_kernelINS0_10ALayout_RMILNS0_14KReductionTypeE0EEENS0_15BLayout_TC_int4ILi2ELi128EEES4_Li8ELi8EEEvPKvS8_S8_Pviiiiii,comdat
	.protected	_ZN2at6native30tinygemm_m16n8k16_chunk_kernelINS0_10ALayout_RMILNS0_14KReductionTypeE0EEENS0_15BLayout_TC_int4ILi2ELi128EEES4_Li8ELi8EEEvPKvS8_S8_Pviiiiii ; -- Begin function _ZN2at6native30tinygemm_m16n8k16_chunk_kernelINS0_10ALayout_RMILNS0_14KReductionTypeE0EEENS0_15BLayout_TC_int4ILi2ELi128EEES4_Li8ELi8EEEvPKvS8_S8_Pviiiiii
	.globl	_ZN2at6native30tinygemm_m16n8k16_chunk_kernelINS0_10ALayout_RMILNS0_14KReductionTypeE0EEENS0_15BLayout_TC_int4ILi2ELi128EEES4_Li8ELi8EEEvPKvS8_S8_Pviiiiii
	.p2align	8
	.type	_ZN2at6native30tinygemm_m16n8k16_chunk_kernelINS0_10ALayout_RMILNS0_14KReductionTypeE0EEENS0_15BLayout_TC_int4ILi2ELi128EEES4_Li8ELi8EEEvPKvS8_S8_Pviiiiii,@function
_ZN2at6native30tinygemm_m16n8k16_chunk_kernelINS0_10ALayout_RMILNS0_14KReductionTypeE0EEENS0_15BLayout_TC_int4ILi2ELi128EEES4_Li8ELi8EEEvPKvS8_S8_Pviiiiii: ; @_ZN2at6native30tinygemm_m16n8k16_chunk_kernelINS0_10ALayout_RMILNS0_14KReductionTypeE0EEENS0_15BLayout_TC_int4ILi2ELi128EEES4_Li8ELi8EEEvPKvS8_S8_Pviiiiii
; %bb.0:
	s_load_dwordx2 s[6:7], s[0:1], 0x30
	s_load_dwordx4 s[16:19], s[0:1], 0x0
	s_load_dwordx8 s[8:15], s[0:1], 0x10
	v_bfe_u32 v28, v0, 10, 10
	v_and_b32_e32 v26, 0x3ff, v0
	s_waitcnt lgkmcnt(0)
	s_ashr_i32 s0, s7, 31
	s_lshr_b32 s0, s0, 29
	s_add_i32 s0, s7, s0
	v_lshlrev_b32_e32 v0, 3, v28
	s_and_b32 s5, s0, -8
	v_lshl_add_u32 v30, s2, 6, v0
	v_mov_b32_e32 v0, 0
	v_cmp_gt_i32_e32 vcc, s5, v30
	v_mov_b32_e32 v1, v0
	v_mov_b32_e32 v2, v0
	;; [unrolled: 1-line block ×3, first 2 shown]
	v_and_b32_e32 v29, 15, v26
	v_lshrrev_b32_e32 v27, 2, v26
	s_and_saveexec_b64 s[20:21], vcc
	s_cbranch_execz .LBB6_12
; %bb.1:
	v_lshl_or_b32 v1, s4, 4, v29
	s_lshr_b32 s0, s7, 31
	v_mul_lo_u32 v2, s14, v1
	s_add_i32 s0, s7, s0
	v_and_b32_e32 v6, 0xfc, v27
	v_ashrrev_i32_e32 v3, 31, v2
	v_cmp_gt_i32_e32 vcc, s12, v1
	s_ashr_i32 s15, s0, 1
	s_lshl_b32 s0, s2, 10
	v_lshlrev_b32_e32 v1, 7, v28
	v_lshl_add_u64 v[4:5], v[2:3], 1, s[16:17]
	s_mul_i32 s15, s15, s3
	v_lshl_or_b32 v31, s3, 4, v29
	s_lshl_b32 s24, s6, 4
	v_add3_u32 v6, s0, v1, v6
	s_mov_b64 s[22:23], 0
	v_mov_b32_e32 v32, 0xf000f
	v_mov_b32_e32 v33, 0x43004300
	s_mov_b32 s2, 0x5040100
	v_mov_b32_e32 v1, v0
	v_mov_b32_e32 v2, v0
	;; [unrolled: 1-line block ×3, first 2 shown]
	s_branch .LBB6_3
.LBB6_2:                                ;   in Loop: Header=BB6_3 Depth=1
	s_or_b64 exec, exec, s[0:1]
	v_lshrrev_b32_e32 v7, 1, v30
	v_add_u32_e32 v7, s15, v7
	v_lshl_add_u32 v24, v7, 6, v26
	v_ashrrev_i32_e32 v25, 31, v24
	v_lshl_add_u64 v[24:25], v[24:25], 2, s[18:19]
	global_load_dword v7, v[24:25], off
	v_ashrrev_i32_e32 v34, 3, v30
	v_mul_lo_u32 v34, s24, v34
	v_add_lshl_u32 v34, v31, v34, 1
	v_ashrrev_i32_e32 v35, 31, v34
	v_lshl_add_u64 v[34:35], v[34:35], 1, s[8:9]
	global_load_dword v36, v[34:35], off
	global_load_dword v37, v[24:25], off offset:256
	global_load_dword v38, v[24:25], off offset:512
	;; [unrolled: 1-line block ×3, first 2 shown]
	v_add_u32_e32 v30, 64, v30
	v_add_u32_e32 v6, 0x400, v6
	s_waitcnt vmcnt(4)
	v_lshrrev_b32_e32 v24, 4, v7
	v_lshrrev_b32_e32 v25, 8, v7
	v_lshrrev_b32_e32 v34, 12, v7
	;;#ASMSTART
	v_and_or_b32 v7, v7, v32, v33
	;;#ASMEND
	;;#ASMSTART
	v_and_or_b32 v24, v24, v32, v33
	;;#ASMEND
	;; [unrolled: 3-line block ×3, first 2 shown]
	s_waitcnt vmcnt(3)
	v_and_b32_e32 v50, 0xffff0000, v36
	v_and_b32_e32 v42, 0xffff0000, v24
	v_lshlrev_b32_e32 v24, 16, v24
	v_and_b32_e32 v43, 0xffff0000, v25
	v_lshlrev_b32_e32 v25, 16, v25
	v_add_f32_e32 v24, 0xc3080000, v24
	v_add_f32_e32 v25, 0xc3080000, v25
	v_lshlrev_b32_e32 v51, 16, v36
	s_waitcnt vmcnt(2)
	v_lshrrev_b32_e32 v35, 4, v37
	v_lshrrev_b32_e32 v36, 8, v37
	v_cvt_pk_bf16_f32 v24, v24, s0
	v_cvt_pk_bf16_f32 v25, v25, s0
	v_lshrrev_b32_e32 v39, 12, v37
	;;#ASMSTART
	v_and_or_b32 v34, v34, v32, v33
	;;#ASMEND
	;;#ASMSTART
	v_and_or_b32 v37, v37, v32, v33
	;;#ASMEND
	;; [unrolled: 3-line block ×4, first 2 shown]
	v_lshlrev_b32_e32 v24, 16, v24
	v_and_b32_e32 v47, 0xffff0000, v36
	v_lshlrev_b32_e32 v25, 16, v25
	;;#ASMSTART
	v_and_or_b32 v39, v39, v32, v33
	;;#ASMEND
	v_add_f32_e32 v47, 0xc3080000, v47
	v_fma_f32 v24, v24, v51, v50
	v_fma_f32 v25, v25, v51, v50
	v_cvt_pk_bf16_f32 v48, v24, s0
	v_cvt_pk_bf16_f32 v49, v25, s0
	v_cvt_pk_bf16_f32 v24, v47, s0
	v_lshlrev_b32_e32 v25, 16, v36
	v_and_b32_e32 v36, 0xffff0000, v39
	v_lshlrev_b32_e32 v39, 16, v39
	v_add_f32_e32 v39, 0xc3080000, v39
	v_lshlrev_b32_e32 v24, 16, v24
	v_cvt_pk_bf16_f32 v39, v39, s0
	v_fma_f32 v24, v24, v51, v50
	v_add_f32_e32 v25, 0xc3080000, v25
	v_add_f32_e32 v36, 0xc3080000, v36
	v_cvt_pk_bf16_f32 v52, v24, s0
	v_lshlrev_b32_e32 v24, 16, v39
	v_cvt_pk_bf16_f32 v25, v25, s0
	v_cvt_pk_bf16_f32 v36, v36, s0
	v_fma_f32 v24, v24, v51, v50
	v_lshlrev_b32_e32 v25, 16, v25
	v_cvt_pk_bf16_f32 v53, v24, s0
	v_lshlrev_b32_e32 v24, 16, v36
	v_fma_f32 v25, v25, v51, v50
	v_fma_f32 v24, v24, v51, v50
	v_cvt_pk_bf16_f32 v47, v25, s0
	v_cvt_pk_bf16_f32 v36, v24, s0
	s_waitcnt vmcnt(1)
	v_lshrrev_b32_e32 v24, 4, v38
	v_lshrrev_b32_e32 v25, 8, v38
	;; [unrolled: 1-line block ×3, first 2 shown]
	;;#ASMSTART
	v_and_or_b32 v38, v38, v32, v33
	;;#ASMEND
	v_add_f32_e32 v42, 0xc3080000, v42
	;;#ASMSTART
	v_and_or_b32 v24, v24, v32, v33
	;;#ASMEND
	v_and_b32_e32 v54, 0xffff0000, v38
	v_lshlrev_b32_e32 v38, 16, v38
	v_cvt_pk_bf16_f32 v42, v42, s0
	v_add_f32_e32 v38, 0xc3080000, v38
	v_and_b32_e32 v55, 0xffff0000, v24
	v_lshlrev_b32_e32 v24, 16, v24
	v_lshlrev_b32_e32 v42, 16, v42
	v_cvt_pk_bf16_f32 v38, v38, s0
	v_add_f32_e32 v24, 0xc3080000, v24
	v_fma_f32 v42, v42, v51, v50
	;;#ASMSTART
	v_and_or_b32 v25, v25, v32, v33
	;;#ASMEND
	v_add_f32_e32 v54, 0xc3080000, v54
	v_cvt_pk_bf16_f32 v56, v24, s0
	v_and_b32_e32 v24, 0xffff0000, v25
	v_lshlrev_b32_e32 v38, 16, v38
	v_cvt_pk_bf16_f32 v42, v42, s0
	v_cvt_pk_bf16_f32 v54, v54, s0
	v_add_f32_e32 v24, 0xc3080000, v24
	v_fma_f32 v38, v38, v51, v50
	v_cvt_pk_bf16_f32 v57, v24, s0
	v_lshlrev_b32_e32 v24, 16, v25
	v_perm_b32 v25, v42, v48, s2
	v_cvt_pk_bf16_f32 v48, v38, s0
	v_lshlrev_b32_e32 v38, 16, v54
	v_and_b32_e32 v41, 0xffff0000, v7
	v_lshlrev_b32_e32 v7, 16, v7
	v_fma_f32 v38, v38, v51, v50
	v_add_f32_e32 v41, 0xc3080000, v41
	v_add_f32_e32 v7, 0xc3080000, v7
	v_add_f32_e32 v55, 0xc3080000, v55
	v_cvt_pk_bf16_f32 v54, v38, s0
	v_lshlrev_b32_e32 v38, 16, v56
	v_cvt_pk_bf16_f32 v41, v41, s0
	v_cvt_pk_bf16_f32 v7, v7, s0
	;; [unrolled: 1-line block ×3, first 2 shown]
	v_fma_f32 v38, v38, v51, v50
	v_lshlrev_b32_e32 v7, 16, v7
	v_lshlrev_b32_e32 v41, 16, v41
	v_add_f32_e32 v24, 0xc3080000, v24
	v_cvt_pk_bf16_f32 v56, v38, s0
	v_lshlrev_b32_e32 v38, 16, v55
	v_and_b32_e32 v44, 0xffff0000, v34
	v_lshlrev_b32_e32 v34, 16, v34
	v_fma_f32 v7, v7, v51, v50
	v_fma_f32 v41, v41, v51, v50
	v_cvt_pk_bf16_f32 v58, v24, s0
	v_fma_f32 v38, v38, v51, v50
	v_add_f32_e32 v44, 0xc3080000, v44
	v_add_f32_e32 v34, 0xc3080000, v34
	v_cvt_pk_bf16_f32 v7, v7, s0
	v_cvt_pk_bf16_f32 v41, v41, s0
	;;#ASMSTART
	v_and_or_b32 v39, v39, v32, v33
	;;#ASMEND
	v_cvt_pk_bf16_f32 v55, v38, s0
	v_lshlrev_b32_e32 v38, 16, v58
	v_add_f32_e32 v43, 0xc3080000, v43
	v_cvt_pk_bf16_f32 v44, v44, s0
	v_cvt_pk_bf16_f32 v34, v34, s0
	v_perm_b32 v24, v41, v7, s2
	v_and_b32_e32 v7, 0xffff0000, v39
	v_lshlrev_b32_e32 v39, 16, v39
	v_fma_f32 v38, v38, v51, v50
	v_and_b32_e32 v45, 0xffff0000, v37
	v_lshlrev_b32_e32 v37, 16, v37
	v_and_b32_e32 v46, 0xffff0000, v35
	v_lshlrev_b32_e32 v35, 16, v35
	v_cvt_pk_bf16_f32 v43, v43, s0
	v_lshlrev_b32_e32 v34, 16, v34
	v_lshlrev_b32_e32 v44, 16, v44
	v_add_f32_e32 v39, 0xc3080000, v39
	v_cvt_pk_bf16_f32 v58, v38, s0
	v_lshlrev_b32_e32 v38, 16, v57
	v_add_f32_e32 v45, 0xc3080000, v45
	v_add_f32_e32 v37, 0xc3080000, v37
	;; [unrolled: 1-line block ×4, first 2 shown]
	v_lshlrev_b32_e32 v43, 16, v43
	v_fma_f32 v34, v34, v51, v50
	v_fma_f32 v44, v44, v51, v50
	v_cvt_pk_bf16_f32 v39, v39, s0
	v_fma_f32 v38, v38, v51, v50
	v_cvt_pk_bf16_f32 v45, v45, s0
	v_cvt_pk_bf16_f32 v37, v37, s0
	;; [unrolled: 1-line block ×4, first 2 shown]
	v_fma_f32 v43, v43, v51, v50
	v_cvt_pk_bf16_f32 v34, v34, s0
	v_cvt_pk_bf16_f32 v44, v44, s0
	;; [unrolled: 1-line block ×3, first 2 shown]
	v_lshlrev_b32_e32 v38, 16, v39
	v_cvt_pk_bf16_f32 v43, v43, s0
	v_lshlrev_b32_e32 v37, 16, v37
	v_lshlrev_b32_e32 v45, 16, v45
	;; [unrolled: 1-line block ×4, first 2 shown]
	v_fma_f32 v38, v38, v51, v50
	v_perm_b32 v39, v44, v34, s2
	s_waitcnt vmcnt(0)
	v_lshrrev_b32_e32 v34, 8, v40
	v_lshrrev_b32_e32 v42, 12, v40
	v_fma_f32 v37, v37, v51, v50
	v_fma_f32 v45, v45, v51, v50
	;; [unrolled: 1-line block ×4, first 2 shown]
	v_cvt_pk_bf16_f32 v59, v38, s0
	v_lshrrev_b32_e32 v41, 4, v40
	v_perm_b32 v38, v43, v49, s2
	;;#ASMSTART
	v_and_or_b32 v43, v40, v32, v33
	;;#ASMEND
	;;#ASMSTART
	v_and_or_b32 v44, v41, v32, v33
	;;#ASMEND
	;; [unrolled: 3-line block ×4, first 2 shown]
	v_cvt_pk_bf16_f32 v37, v37, s0
	v_and_b32_e32 v42, 0xffff0000, v44
	v_cvt_pk_bf16_f32 v45, v45, s0
	v_cvt_pk_bf16_f32 v35, v35, s0
	;; [unrolled: 1-line block ×3, first 2 shown]
	v_add_f32_e32 v42, 0xc3080000, v42
	v_perm_b32 v40, v45, v37, s2
	v_perm_b32 v41, v46, v35, s2
	v_and_b32_e32 v35, 0xffff0000, v43
	v_lshlrev_b32_e32 v37, 16, v43
	v_cvt_pk_bf16_f32 v45, v42, s0
	v_lshlrev_b32_e32 v42, 16, v44
	v_perm_b32 v43, v36, v53, s2
	v_and_b32_e32 v36, 0xffff0000, v34
	v_lshlrev_b32_e32 v34, 16, v34
	v_add_f32_e32 v42, 0xc3080000, v42
	v_add_f32_e32 v34, 0xc3080000, v34
	v_cvt_pk_bf16_f32 v44, v42, s0
	v_perm_b32 v42, v52, v47, s2
	v_cvt_pk_bf16_f32 v47, v34, s0
	v_and_b32_e32 v34, 0xffff0000, v49
	v_add_f32_e32 v34, 0xc3080000, v34
	v_add_f32_e32 v37, 0xc3080000, v37
	v_cvt_pk_bf16_f32 v52, v34, s0
	v_lshlrev_b32_e32 v34, 16, v49
	v_cvt_pk_bf16_f32 v37, v37, s0
	v_add_f32_e32 v34, 0xc3080000, v34
	v_add_f32_e32 v35, 0xc3080000, v35
	v_cvt_pk_bf16_f32 v49, v34, s0
	v_lshlrev_b32_e32 v34, 16, v37
	v_cvt_pk_bf16_f32 v35, v35, s0
	v_fma_f32 v34, v34, v51, v50
	v_cvt_pk_bf16_f32 v53, v34, s0
	v_lshlrev_b32_e32 v34, 16, v35
	v_fma_f32 v34, v34, v51, v50
	v_cvt_pk_bf16_f32 v60, v34, s0
	v_lshlrev_b32_e32 v34, 16, v44
	v_fma_f32 v34, v34, v51, v50
	v_add_f32_e32 v36, 0xc3080000, v36
	v_cvt_pk_bf16_f32 v61, v34, s0
	v_lshlrev_b32_e32 v34, 16, v45
	v_add_f32_e32 v7, 0xc3080000, v7
	v_cvt_pk_bf16_f32 v46, v36, s0
	v_fma_f32 v44, v34, v51, v50
	v_mfma_f32_16x16x16_bf16 v[34:37], v[12:13], v[24:25], 0
	v_lshlrev_b32_e32 v12, 16, v47
	v_cvt_pk_bf16_f32 v7, v7, s0
	v_fma_f32 v25, v12, v51, v50
	v_mfma_f32_16x16x16_bf16 v[10:13], v[10:11], v[38:39], 0
	v_lshlrev_b32_e32 v38, 16, v46
	v_lshlrev_b32_e32 v7, 16, v7
	v_cvt_pk_bf16_f32 v24, v44, s0
	v_fma_f32 v44, v38, v51, v50
	v_mfma_f32_16x16x16_bf16 v[38:41], v[8:9], v[40:41], 0
	v_lshlrev_b32_e32 v8, 16, v49
	v_fma_f32 v7, v7, v51, v50
	v_fma_f32 v8, v8, v51, v50
	v_cvt_pk_bf16_f32 v7, v7, s0
	v_cvt_pk_bf16_f32 v62, v44, s0
	v_mfma_f32_16x16x16_bf16 v[42:45], v[14:15], v[42:43], 0
	v_cvt_pk_bf16_f32 v63, v8, s0
	v_perm_b32 v8, v54, v48, s2
	v_perm_b32 v9, v55, v56, s2
	v_lshlrev_b32_e32 v14, 16, v52
	v_fmac_f32_e32 v50, v14, v51
	v_mfma_f32_16x16x16_bf16 v[46:49], v[20:21], v[8:9], 0
	v_perm_b32 v8, v57, v58, s2
	v_perm_b32 v9, v7, v59, s2
	v_pk_add_f32 v[2:3], v[2:3], v[36:37]
	v_pk_add_f32 v[0:1], v[0:1], v[34:35]
	v_cvt_pk_bf16_f32 v25, v25, s0
	v_mfma_f32_16x16x16_bf16 v[18:21], v[18:19], v[8:9], 0
	v_perm_b32 v8, v60, v53, s2
	v_perm_b32 v9, v24, v61, s2
	v_cvt_pk_bf16_f32 v7, v50, s0
	v_pk_add_f32 v[2:3], v[2:3], v[12:13]
	v_pk_add_f32 v[0:1], v[0:1], v[10:11]
	v_mfma_f32_16x16x16_bf16 v[14:17], v[16:17], v[8:9], 0
	v_perm_b32 v8, v62, v25, s2
	v_perm_b32 v9, v7, v63, s2
	v_pk_add_f32 v[2:3], v[2:3], v[40:41]
	v_pk_add_f32 v[0:1], v[0:1], v[38:39]
	v_mfma_f32_16x16x16_bf16 v[22:25], v[22:23], v[8:9], 0
	v_add_f32_e64 v2, v2, v44
	v_add_f32_e64 v3, v3, v45
	v_pk_add_f32 v[0:1], v[0:1], v[42:43]
	v_pk_add_f32 v[2:3], v[2:3], v[48:49]
	;; [unrolled: 1-line block ×7, first 2 shown]
	v_cmp_le_i32_e64 s[0:1], s5, v30
	v_pk_add_f32 v[2:3], v[2:3], v[24:25]
	v_pk_add_f32 v[0:1], v[0:1], v[22:23]
	s_or_b64 s[22:23], s[0:1], s[22:23]
	s_andn2_b64 exec, exec, s[22:23]
	s_cbranch_execz .LBB6_11
.LBB6_3:                                ; =>This Inner Loop Header: Depth=1
	v_ashrrev_i32_e32 v7, 31, v6
	v_lshl_add_u64 v[24:25], v[6:7], 1, v[4:5]
	v_mov_b32_e32 v8, 0
	v_mov_b32_e32 v12, 0
	;; [unrolled: 1-line block ×5, first 2 shown]
	s_and_saveexec_b64 s[0:1], vcc
	s_cbranch_execz .LBB6_5
; %bb.4:                                ;   in Loop: Header=BB6_3 Depth=1
	global_load_dwordx2 v[12:13], v[24:25], off
	global_load_dwordx2 v[10:11], v[24:25], off offset:32
.LBB6_5:                                ;   in Loop: Header=BB6_3 Depth=1
	s_or_b64 exec, exec, s[0:1]
	v_mov_b32_e32 v9, 0
	v_mov_b32_e32 v14, 0
	;; [unrolled: 1-line block ×3, first 2 shown]
	s_and_saveexec_b64 s[0:1], vcc
	s_cbranch_execz .LBB6_7
; %bb.6:                                ;   in Loop: Header=BB6_3 Depth=1
	global_load_dwordx2 v[8:9], v[24:25], off offset:64
	global_load_dwordx2 v[14:15], v[24:25], off offset:96
.LBB6_7:                                ;   in Loop: Header=BB6_3 Depth=1
	s_or_b64 exec, exec, s[0:1]
	v_mov_b32_e32 v16, 0
	v_mov_b32_e32 v20, 0
	;; [unrolled: 1-line block ×5, first 2 shown]
	s_and_saveexec_b64 s[0:1], vcc
	s_cbranch_execz .LBB6_9
; %bb.8:                                ;   in Loop: Header=BB6_3 Depth=1
	global_load_dwordx2 v[20:21], v[24:25], off offset:128
	global_load_dwordx2 v[18:19], v[24:25], off offset:160
.LBB6_9:                                ;   in Loop: Header=BB6_3 Depth=1
	s_or_b64 exec, exec, s[0:1]
	v_mov_b32_e32 v17, 0
	v_mov_b32_e32 v22, 0
	;; [unrolled: 1-line block ×3, first 2 shown]
	s_and_saveexec_b64 s[0:1], vcc
	s_cbranch_execz .LBB6_2
; %bb.10:                               ;   in Loop: Header=BB6_3 Depth=1
	global_load_dwordx2 v[16:17], v[24:25], off offset:192
	global_load_dwordx2 v[22:23], v[24:25], off offset:224
	s_branch .LBB6_2
.LBB6_11:
	s_or_b64 exec, exec, s[22:23]
.LBB6_12:
	s_or_b64 exec, exec, s[20:21]
	v_lshl_add_u32 v8, v28, 1, s5
	v_cmp_gt_u32_e32 vcc, s7, v8
	s_and_saveexec_b64 s[0:1], vcc
	s_cbranch_execz .LBB6_16
; %bb.13:
	v_lshl_or_b32 v9, s4, 4, v29
	v_cmp_gt_i32_e32 vcc, s12, v9
	v_mov_b32_e32 v6, 0
	v_mov_b32_e32 v7, 0
	;; [unrolled: 1-line block ×4, first 2 shown]
	s_and_saveexec_b64 s[20:21], vcc
	s_cbranch_execz .LBB6_15
; %bb.14:
	v_mul_lo_u32 v4, s14, v9
	v_and_b32_e32 v6, 0xfc, v27
	v_ashrrev_i32_e32 v5, 31, v4
	v_lshl_add_u32 v6, v8, 4, v6
	v_lshl_add_u64 v[4:5], v[4:5], 1, s[16:17]
	v_ashrrev_i32_e32 v7, 31, v6
	v_lshl_add_u64 v[10:11], v[6:7], 1, v[4:5]
	global_load_dwordx2 v[6:7], v[10:11], off
	global_load_dwordx2 v[4:5], v[10:11], off offset:32
.LBB6_15:
	s_or_b64 exec, exec, s[20:21]
	s_lshr_b32 s2, s7, 31
	s_add_i32 s2, s7, s2
	s_lshr_b32 s2, s2, 1
	s_mul_i32 s2, s2, s3
	v_lshrrev_b32_e32 v9, 1, v8
	v_add_u32_e32 v9, s2, v9
	v_lshl_add_u32 v10, v9, 6, v26
	v_ashrrev_i32_e32 v11, 31, v10
	v_lshl_add_u64 v[10:11], v[10:11], 2, s[18:19]
	global_load_dword v10, v[10:11], off
	v_ashrrev_i32_e32 v11, 31, v8
	v_lshrrev_b32_e32 v11, 29, v11
	v_add_u32_e32 v8, v8, v11
	v_lshrrev_b32_e32 v8, 3, v8
	v_mul_lo_u32 v8, s6, v8
	v_lshl_or_b32 v9, s3, 4, v29
	v_lshlrev_b32_e32 v8, 4, v8
	v_add_lshl_u32 v8, v9, v8, 1
	v_ashrrev_i32_e32 v9, 31, v8
	v_lshl_add_u64 v[8:9], v[8:9], 1, s[8:9]
	global_load_dword v8, v[8:9], off
	v_mov_b32_e32 v9, 0xf000f
	v_mov_b32_e32 v11, 0x43004300
	s_mov_b32 s2, 0x5040100
	s_waitcnt vmcnt(1)
	v_lshrrev_b32_e32 v12, 4, v10
	v_lshrrev_b32_e32 v13, 8, v10
	;; [unrolled: 1-line block ×3, first 2 shown]
	;;#ASMSTART
	v_and_or_b32 v10, v10, v9, v11
	;;#ASMEND
	;;#ASMSTART
	v_and_or_b32 v12, v12, v9, v11
	;;#ASMEND
	;; [unrolled: 3-line block ×4, first 2 shown]
	s_waitcnt vmcnt(0)
	v_and_b32_e32 v14, 0xffff0000, v8
	v_and_b32_e32 v11, 0xffff0000, v10
	v_lshlrev_b32_e32 v10, 16, v10
	v_and_b32_e32 v15, 0xffff0000, v12
	v_lshlrev_b32_e32 v12, 16, v12
	v_add_f32_e32 v11, 0xc3080000, v11
	v_add_f32_e32 v10, 0xc3080000, v10
	v_and_b32_e32 v16, 0xffff0000, v13
	v_lshlrev_b32_e32 v13, 16, v13
	v_and_b32_e32 v17, 0xffff0000, v9
	v_lshlrev_b32_e32 v9, 16, v9
	v_add_f32_e32 v15, 0xc3080000, v15
	v_add_f32_e32 v12, 0xc3080000, v12
	v_cvt_pk_bf16_f32 v11, v11, s0
	v_cvt_pk_bf16_f32 v10, v10, s0
	v_add_f32_e32 v16, 0xc3080000, v16
	v_add_f32_e32 v13, 0xc3080000, v13
	;; [unrolled: 1-line block ×4, first 2 shown]
	v_cvt_pk_bf16_f32 v15, v15, s0
	v_cvt_pk_bf16_f32 v12, v12, s0
	v_lshlrev_b32_e32 v8, 16, v8
	v_cvt_pk_bf16_f32 v16, v16, s0
	v_cvt_pk_bf16_f32 v13, v13, s0
	;; [unrolled: 1-line block ×4, first 2 shown]
	v_lshlrev_b32_e32 v10, 16, v10
	v_lshlrev_b32_e32 v11, 16, v11
	;; [unrolled: 1-line block ×4, first 2 shown]
	v_fma_f32 v10, v10, v8, v14
	v_fma_f32 v11, v11, v8, v14
	v_lshlrev_b32_e32 v13, 16, v13
	v_lshlrev_b32_e32 v16, 16, v16
	;; [unrolled: 1-line block ×4, first 2 shown]
	v_fma_f32 v12, v12, v8, v14
	v_fma_f32 v15, v15, v8, v14
	v_cvt_pk_bf16_f32 v10, v10, s0
	v_cvt_pk_bf16_f32 v11, v11, s0
	v_fma_f32 v13, v13, v8, v14
	v_fma_f32 v16, v16, v8, v14
	;; [unrolled: 1-line block ×3, first 2 shown]
	v_fmac_f32_e32 v14, v17, v8
	v_cvt_pk_bf16_f32 v12, v12, s0
	v_cvt_pk_bf16_f32 v15, v15, s0
	v_cvt_pk_bf16_f32 v13, v13, s0
	v_cvt_pk_bf16_f32 v16, v16, s0
	v_cvt_pk_bf16_f32 v17, v9, s0
	v_perm_b32 v8, v11, v10, s2
	v_perm_b32 v9, v15, v12, s2
	v_cvt_pk_bf16_f32 v11, v14, s0
	v_perm_b32 v10, v16, v13, s2
	v_mfma_f32_16x16x16_bf16 v[6:9], v[6:7], v[8:9], 0
	v_perm_b32 v11, v11, v17, s2
	s_nop 1
	v_mfma_f32_16x16x16_bf16 v[10:13], v[4:5], v[10:11], 0
	s_nop 3
	v_add_f32_e64 v2, v2, v8
	v_add_f32_e64 v3, v3, v9
	v_pk_add_f32 v[0:1], v[0:1], v[6:7]
	s_nop 0
	v_pk_add_f32 v[2:3], v[2:3], v[12:13]
	v_pk_add_f32 v[0:1], v[0:1], v[10:11]
.LBB6_16:
	s_or_b64 exec, exec, s[0:1]
	v_lshlrev_b32_e32 v29, 4, v26
	v_lshl_add_u32 v4, v28, 10, v29
	v_cmp_eq_u32_e32 vcc, 0, v28
	ds_write_b128 v4, v[0:3]
	s_waitcnt lgkmcnt(0)
	s_barrier
	s_and_saveexec_b64 s[0:1], vcc
	s_cbranch_execz .LBB6_25
; %bb.17:
	v_add_u32_e32 v6, 12, v29
	v_add_u32_e32 v4, 0x404, v29
	;; [unrolled: 1-line block ×7, first 2 shown]
	ds_read2st64_b32 v[0:1], v6 offset1:4
	ds_read2st64_b32 v[2:3], v6 offset0:8 offset1:12
	ds_read2_b32 v[10:11], v29 offset0:1 offset1:2
	ds_read2_b32 v[12:13], v4 offset1:1
	ds_read2_b32 v[14:15], v5 offset1:1
	;; [unrolled: 1-line block ×3, first 2 shown]
	ds_read2st64_b32 v[4:5], v6 offset0:16 offset1:20
	v_add_u32_e32 v9, 0x1404, v29
	ds_read2st64_b32 v[6:7], v6 offset0:24 offset1:28
	ds_read2_b32 v[18:19], v8 offset1:1
	ds_read2_b32 v[20:21], v9 offset1:1
	;; [unrolled: 1-line block ×4, first 2 shown]
	v_and_b32_e32 v8, 0xfc, v27
	v_lshl_add_u32 v27, s4, 4, v8
	s_lshl_b32 s0, s3, 4
	v_mul_lo_u32 v30, s13, v27
	v_and_or_b32 v8, v26, 15, s0
	v_ashrrev_i32_e32 v31, 31, v30
	v_lshl_add_u64 v[30:31], v[30:31], 1, s[10:11]
	v_ashrrev_i32_e32 v9, 31, v8
	v_lshl_add_u64 v[8:9], v[8:9], 1, v[30:31]
	v_cmp_gt_i32_e32 vcc, s12, v27
	s_and_saveexec_b64 s[0:1], vcc
	s_cbranch_execz .LBB6_19
; %bb.18:
	ds_read2st64_b32 v[30:31], v29 offset1:4
	ds_read2st64_b32 v[32:33], v29 offset0:8 offset1:12
	ds_read2st64_b32 v[34:35], v29 offset0:16 offset1:20
	;; [unrolled: 1-line block ×3, first 2 shown]
	s_waitcnt lgkmcnt(3)
	v_add_f32_e32 v26, 0, v30
	v_add_f32_e32 v26, v26, v31
	s_waitcnt lgkmcnt(2)
	v_add_f32_e32 v26, v26, v32
	v_add_f32_e32 v26, v26, v33
	;; [unrolled: 3-line block ×4, first 2 shown]
	v_cvt_pk_bf16_f32 v26, v26, s0
	global_store_short v[8:9], v26, off
.LBB6_19:
	s_or_b64 exec, exec, s[0:1]
	v_or_b32_e32 v26, 1, v27
	v_cmp_gt_i32_e32 vcc, s12, v26
	s_and_saveexec_b64 s[0:1], vcc
	s_cbranch_execz .LBB6_21
; %bb.20:
	s_waitcnt lgkmcnt(9)
	v_add_f32_e32 v10, 0, v10
	s_waitcnt lgkmcnt(8)
	v_add_f32_e32 v10, v10, v12
	;; [unrolled: 2-line block ×8, first 2 shown]
	s_ashr_i32 s3, s13, 31
	s_mov_b32 s2, s13
	v_cvt_pk_bf16_f32 v10, v10, s0
	v_lshl_add_u64 v[28:29], s[2:3], 1, v[8:9]
	global_store_short v[28:29], v10, off
.LBB6_21:
	s_or_b64 exec, exec, s[0:1]
	s_waitcnt lgkmcnt(9)
	v_or_b32_e32 v10, 2, v27
	v_cmp_gt_i32_e32 vcc, s12, v10
	s_and_saveexec_b64 s[0:1], vcc
	s_cbranch_execz .LBB6_23
; %bb.22:
	v_add_f32_e32 v10, 0, v11
	s_waitcnt lgkmcnt(8)
	v_add_f32_e32 v10, v10, v13
	s_waitcnt lgkmcnt(7)
	;; [unrolled: 2-line block ×6, first 2 shown]
	v_add_f32_e32 v10, v10, v23
	s_lshl_b32 s2, s13, 1
	s_waitcnt lgkmcnt(0)
	v_add_f32_e32 v10, v10, v25
	s_ashr_i32 s3, s2, 31
	v_cvt_pk_bf16_f32 v12, v10, s0
	v_lshl_add_u64 v[10:11], s[2:3], 1, v[8:9]
	global_store_short v[10:11], v12, off
.LBB6_23:
	s_or_b64 exec, exec, s[0:1]
	v_or_b32_e32 v10, 3, v27
	v_cmp_gt_i32_e32 vcc, s12, v10
	s_and_b64 exec, exec, vcc
	s_cbranch_execz .LBB6_25
; %bb.24:
	v_add_f32_e32 v0, 0, v0
	v_add_f32_e32 v0, v0, v1
	;; [unrolled: 1-line block ×4, first 2 shown]
	s_waitcnt lgkmcnt(5)
	v_add_f32_e32 v0, v0, v4
	v_add_f32_e32 v0, v0, v5
	s_waitcnt lgkmcnt(4)
	v_add_f32_e32 v0, v0, v6
	v_add_f32_e32 v0, v0, v7
	v_cvt_pk_bf16_f32 v2, v0, s0
	s_mul_i32 s0, s13, 3
	s_ashr_i32 s1, s0, 31
	v_lshl_add_u64 v[0:1], s[0:1], 1, v[8:9]
	global_store_short v[0:1], v2, off
.LBB6_25:
	s_endpgm
	.section	.rodata,"a",@progbits
	.p2align	6, 0x0
	.amdhsa_kernel _ZN2at6native30tinygemm_m16n8k16_chunk_kernelINS0_10ALayout_RMILNS0_14KReductionTypeE0EEENS0_15BLayout_TC_int4ILi2ELi128EEES4_Li8ELi8EEEvPKvS8_S8_Pviiiiii
		.amdhsa_group_segment_fixed_size 8192
		.amdhsa_private_segment_fixed_size 0
		.amdhsa_kernarg_size 56
		.amdhsa_user_sgpr_count 2
		.amdhsa_user_sgpr_dispatch_ptr 0
		.amdhsa_user_sgpr_queue_ptr 0
		.amdhsa_user_sgpr_kernarg_segment_ptr 1
		.amdhsa_user_sgpr_dispatch_id 0
		.amdhsa_user_sgpr_kernarg_preload_length 0
		.amdhsa_user_sgpr_kernarg_preload_offset 0
		.amdhsa_user_sgpr_private_segment_size 0
		.amdhsa_uses_dynamic_stack 0
		.amdhsa_enable_private_segment 0
		.amdhsa_system_sgpr_workgroup_id_x 1
		.amdhsa_system_sgpr_workgroup_id_y 1
		.amdhsa_system_sgpr_workgroup_id_z 1
		.amdhsa_system_sgpr_workgroup_info 0
		.amdhsa_system_vgpr_workitem_id 1
		.amdhsa_next_free_vgpr 64
		.amdhsa_next_free_sgpr 25
		.amdhsa_accum_offset 64
		.amdhsa_reserve_vcc 1
		.amdhsa_float_round_mode_32 0
		.amdhsa_float_round_mode_16_64 0
		.amdhsa_float_denorm_mode_32 3
		.amdhsa_float_denorm_mode_16_64 3
		.amdhsa_dx10_clamp 1
		.amdhsa_ieee_mode 1
		.amdhsa_fp16_overflow 0
		.amdhsa_tg_split 0
		.amdhsa_exception_fp_ieee_invalid_op 0
		.amdhsa_exception_fp_denorm_src 0
		.amdhsa_exception_fp_ieee_div_zero 0
		.amdhsa_exception_fp_ieee_overflow 0
		.amdhsa_exception_fp_ieee_underflow 0
		.amdhsa_exception_fp_ieee_inexact 0
		.amdhsa_exception_int_div_zero 0
	.end_amdhsa_kernel
	.section	.text._ZN2at6native30tinygemm_m16n8k16_chunk_kernelINS0_10ALayout_RMILNS0_14KReductionTypeE0EEENS0_15BLayout_TC_int4ILi2ELi128EEES4_Li8ELi8EEEvPKvS8_S8_Pviiiiii,"axG",@progbits,_ZN2at6native30tinygemm_m16n8k16_chunk_kernelINS0_10ALayout_RMILNS0_14KReductionTypeE0EEENS0_15BLayout_TC_int4ILi2ELi128EEES4_Li8ELi8EEEvPKvS8_S8_Pviiiiii,comdat
.Lfunc_end6:
	.size	_ZN2at6native30tinygemm_m16n8k16_chunk_kernelINS0_10ALayout_RMILNS0_14KReductionTypeE0EEENS0_15BLayout_TC_int4ILi2ELi128EEES4_Li8ELi8EEEvPKvS8_S8_Pviiiiii, .Lfunc_end6-_ZN2at6native30tinygemm_m16n8k16_chunk_kernelINS0_10ALayout_RMILNS0_14KReductionTypeE0EEENS0_15BLayout_TC_int4ILi2ELi128EEES4_Li8ELi8EEEvPKvS8_S8_Pviiiiii
                                        ; -- End function
	.set _ZN2at6native30tinygemm_m16n8k16_chunk_kernelINS0_10ALayout_RMILNS0_14KReductionTypeE0EEENS0_15BLayout_TC_int4ILi2ELi128EEES4_Li8ELi8EEEvPKvS8_S8_Pviiiiii.num_vgpr, 64
	.set _ZN2at6native30tinygemm_m16n8k16_chunk_kernelINS0_10ALayout_RMILNS0_14KReductionTypeE0EEENS0_15BLayout_TC_int4ILi2ELi128EEES4_Li8ELi8EEEvPKvS8_S8_Pviiiiii.num_agpr, 0
	.set _ZN2at6native30tinygemm_m16n8k16_chunk_kernelINS0_10ALayout_RMILNS0_14KReductionTypeE0EEENS0_15BLayout_TC_int4ILi2ELi128EEES4_Li8ELi8EEEvPKvS8_S8_Pviiiiii.numbered_sgpr, 25
	.set _ZN2at6native30tinygemm_m16n8k16_chunk_kernelINS0_10ALayout_RMILNS0_14KReductionTypeE0EEENS0_15BLayout_TC_int4ILi2ELi128EEES4_Li8ELi8EEEvPKvS8_S8_Pviiiiii.num_named_barrier, 0
	.set _ZN2at6native30tinygemm_m16n8k16_chunk_kernelINS0_10ALayout_RMILNS0_14KReductionTypeE0EEENS0_15BLayout_TC_int4ILi2ELi128EEES4_Li8ELi8EEEvPKvS8_S8_Pviiiiii.private_seg_size, 0
	.set _ZN2at6native30tinygemm_m16n8k16_chunk_kernelINS0_10ALayout_RMILNS0_14KReductionTypeE0EEENS0_15BLayout_TC_int4ILi2ELi128EEES4_Li8ELi8EEEvPKvS8_S8_Pviiiiii.uses_vcc, 1
	.set _ZN2at6native30tinygemm_m16n8k16_chunk_kernelINS0_10ALayout_RMILNS0_14KReductionTypeE0EEENS0_15BLayout_TC_int4ILi2ELi128EEES4_Li8ELi8EEEvPKvS8_S8_Pviiiiii.uses_flat_scratch, 0
	.set _ZN2at6native30tinygemm_m16n8k16_chunk_kernelINS0_10ALayout_RMILNS0_14KReductionTypeE0EEENS0_15BLayout_TC_int4ILi2ELi128EEES4_Li8ELi8EEEvPKvS8_S8_Pviiiiii.has_dyn_sized_stack, 0
	.set _ZN2at6native30tinygemm_m16n8k16_chunk_kernelINS0_10ALayout_RMILNS0_14KReductionTypeE0EEENS0_15BLayout_TC_int4ILi2ELi128EEES4_Li8ELi8EEEvPKvS8_S8_Pviiiiii.has_recursion, 0
	.set _ZN2at6native30tinygemm_m16n8k16_chunk_kernelINS0_10ALayout_RMILNS0_14KReductionTypeE0EEENS0_15BLayout_TC_int4ILi2ELi128EEES4_Li8ELi8EEEvPKvS8_S8_Pviiiiii.has_indirect_call, 0
	.section	.AMDGPU.csdata,"",@progbits
; Kernel info:
; codeLenInByte = 4060
; TotalNumSgprs: 31
; NumVgprs: 64
; NumAgprs: 0
; TotalNumVgprs: 64
; ScratchSize: 0
; MemoryBound: 0
; FloatMode: 240
; IeeeMode: 1
; LDSByteSize: 8192 bytes/workgroup (compile time only)
; SGPRBlocks: 3
; VGPRBlocks: 7
; NumSGPRsForWavesPerEU: 31
; NumVGPRsForWavesPerEU: 64
; AccumOffset: 64
; Occupancy: 8
; WaveLimiterHint : 1
; COMPUTE_PGM_RSRC2:SCRATCH_EN: 0
; COMPUTE_PGM_RSRC2:USER_SGPR: 2
; COMPUTE_PGM_RSRC2:TRAP_HANDLER: 0
; COMPUTE_PGM_RSRC2:TGID_X_EN: 1
; COMPUTE_PGM_RSRC2:TGID_Y_EN: 1
; COMPUTE_PGM_RSRC2:TGID_Z_EN: 1
; COMPUTE_PGM_RSRC2:TIDIG_COMP_CNT: 1
; COMPUTE_PGM_RSRC3_GFX90A:ACCUM_OFFSET: 15
; COMPUTE_PGM_RSRC3_GFX90A:TG_SPLIT: 0
	.section	.text._ZN2at6native30tinygemm_m16n8k16_chunk_kernelINS0_10ALayout_RMILNS0_14KReductionTypeE0EEENS0_15BLayout_TC_int4ILi4ELi128EEES4_Li8ELi8EEEvPKvS8_S8_Pviiiiii,"axG",@progbits,_ZN2at6native30tinygemm_m16n8k16_chunk_kernelINS0_10ALayout_RMILNS0_14KReductionTypeE0EEENS0_15BLayout_TC_int4ILi4ELi128EEES4_Li8ELi8EEEvPKvS8_S8_Pviiiiii,comdat
	.protected	_ZN2at6native30tinygemm_m16n8k16_chunk_kernelINS0_10ALayout_RMILNS0_14KReductionTypeE0EEENS0_15BLayout_TC_int4ILi4ELi128EEES4_Li8ELi8EEEvPKvS8_S8_Pviiiiii ; -- Begin function _ZN2at6native30tinygemm_m16n8k16_chunk_kernelINS0_10ALayout_RMILNS0_14KReductionTypeE0EEENS0_15BLayout_TC_int4ILi4ELi128EEES4_Li8ELi8EEEvPKvS8_S8_Pviiiiii
	.globl	_ZN2at6native30tinygemm_m16n8k16_chunk_kernelINS0_10ALayout_RMILNS0_14KReductionTypeE0EEENS0_15BLayout_TC_int4ILi4ELi128EEES4_Li8ELi8EEEvPKvS8_S8_Pviiiiii
	.p2align	8
	.type	_ZN2at6native30tinygemm_m16n8k16_chunk_kernelINS0_10ALayout_RMILNS0_14KReductionTypeE0EEENS0_15BLayout_TC_int4ILi4ELi128EEES4_Li8ELi8EEEvPKvS8_S8_Pviiiiii,@function
_ZN2at6native30tinygemm_m16n8k16_chunk_kernelINS0_10ALayout_RMILNS0_14KReductionTypeE0EEENS0_15BLayout_TC_int4ILi4ELi128EEES4_Li8ELi8EEEvPKvS8_S8_Pviiiiii: ; @_ZN2at6native30tinygemm_m16n8k16_chunk_kernelINS0_10ALayout_RMILNS0_14KReductionTypeE0EEENS0_15BLayout_TC_int4ILi4ELi128EEES4_Li8ELi8EEEvPKvS8_S8_Pviiiiii
; %bb.0:
	s_load_dwordx2 s[6:7], s[0:1], 0x30
	s_load_dwordx4 s[16:19], s[0:1], 0x0
	s_load_dwordx8 s[8:15], s[0:1], 0x10
	v_bfe_u32 v28, v0, 10, 10
	v_and_b32_e32 v26, 0x3ff, v0
	s_waitcnt lgkmcnt(0)
	s_ashr_i32 s5, s7, 31
	s_lshr_b32 s0, s5, 29
	s_add_i32 s0, s7, s0
	v_lshlrev_b32_e32 v0, 3, v28
	s_and_b32 s15, s0, -8
	v_lshl_add_u32 v31, s2, 6, v0
	v_mov_b32_e32 v0, 0
	v_cmp_gt_i32_e32 vcc, s15, v31
	v_mov_b32_e32 v1, v0
	v_mov_b32_e32 v2, v0
	;; [unrolled: 1-line block ×3, first 2 shown]
	v_and_b32_e32 v29, 15, v26
	v_lshrrev_b32_e32 v27, 2, v26
	v_lshlrev_b32_e32 v30, 1, v26
	s_and_saveexec_b64 s[20:21], vcc
	s_cbranch_execz .LBB7_12
; %bb.1:
	v_lshl_or_b32 v1, s4, 4, v29
	s_lshr_b32 s0, s5, 30
	v_mul_lo_u32 v2, s14, v1
	s_add_i32 s0, s7, s0
	v_and_b32_e32 v6, 0xfc, v27
	v_ashrrev_i32_e32 v3, 31, v2
	v_cmp_gt_i32_e32 vcc, s12, v1
	s_ashr_i32 s24, s0, 2
	s_lshl_b32 s0, s2, 10
	v_lshlrev_b32_e32 v1, 7, v28
	v_lshl_add_u64 v[4:5], v[2:3], 1, s[16:17]
	s_mul_i32 s24, s24, s3
	v_lshl_or_b32 v32, s3, 4, v29
	s_lshl_b32 s25, s6, 4
	v_add3_u32 v6, s0, v1, v6
	s_mov_b64 s[22:23], 0
	v_mov_b32_e32 v33, 0xf000f
	v_mov_b32_e32 v34, 0x43004300
	s_mov_b32 s2, 0x5040100
	v_mov_b32_e32 v1, v0
	v_mov_b32_e32 v2, v0
	;; [unrolled: 1-line block ×3, first 2 shown]
	s_branch .LBB7_3
.LBB7_2:                                ;   in Loop: Header=BB7_3 Depth=1
	s_or_b64 exec, exec, s[0:1]
	v_lshrrev_b32_e32 v7, 2, v31
	v_add_u32_e32 v7, s24, v7
	v_lshl_add_u32 v24, v7, 7, v30
	v_ashrrev_i32_e32 v25, 31, v24
	v_lshl_add_u64 v[36:37], v[24:25], 2, s[18:19]
	global_load_dwordx2 v[38:39], v[36:37], off
	v_ashrrev_i32_e32 v7, 3, v31
	v_mul_lo_u32 v7, s25, v7
	v_add_lshl_u32 v24, v32, v7, 1
	v_ashrrev_i32_e32 v25, 31, v24
	v_lshl_add_u64 v[40:41], v[24:25], 1, s[8:9]
	global_load_dword v7, v[40:41], off
	global_load_dwordx2 v[24:25], v[36:37], off offset:512
	s_waitcnt vmcnt(2)
	;;#ASMSTART
	v_and_or_b32 v35, v38, v33, v34
	;;#ASMEND
	v_add_u32_e32 v31, 64, v31
	v_and_b32_e32 v43, 0xffff0000, v35
	v_lshlrev_b32_e32 v35, 16, v35
	v_add_f32_e32 v43, 0xc3080000, v43
	v_add_f32_e32 v35, 0xc3080000, v35
	v_cvt_pk_bf16_f32 v43, v43, s0
	v_cvt_pk_bf16_f32 v35, v35, s0
	v_lshlrev_b32_e32 v35, 16, v35
	v_lshlrev_b32_e32 v43, 16, v43
	v_add_u32_e32 v6, 0x400, v6
	v_lshrrev_b32_e32 v36, 4, v38
	;;#ASMSTART
	v_and_or_b32 v36, v36, v33, v34
	;;#ASMEND
	v_lshrrev_b32_e32 v37, 8, v38
	v_and_b32_e32 v44, 0xffff0000, v36
	v_lshlrev_b32_e32 v36, 16, v36
	v_add_f32_e32 v36, 0xc3080000, v36
	v_lshrrev_b32_e32 v38, 12, v38
	v_lshrrev_b32_e32 v40, 4, v39
	v_lshrrev_b32_e32 v41, 8, v39
	v_cvt_pk_bf16_f32 v36, v36, s0
	s_waitcnt vmcnt(1)
	v_and_b32_e32 v52, 0xffff0000, v7
	v_lshlrev_b32_e32 v7, 16, v7
	v_lshrrev_b32_e32 v42, 12, v39
	;;#ASMSTART
	v_and_or_b32 v37, v37, v33, v34
	;;#ASMEND
	;;#ASMSTART
	v_and_or_b32 v38, v38, v33, v34
	;;#ASMEND
	;; [unrolled: 3-line block ×5, first 2 shown]
	v_lshlrev_b32_e32 v36, 16, v36
	v_and_b32_e32 v49, 0xffff0000, v41
	v_lshlrev_b32_e32 v41, 16, v41
	v_fma_f32 v36, v36, v7, v52
	v_and_b32_e32 v45, 0xffff0000, v37
	v_lshlrev_b32_e32 v37, 16, v37
	v_cvt_pk_bf16_f32 v50, v36, s0
	v_add_f32_e32 v36, 0xc3080000, v41
	v_add_f32_e32 v37, 0xc3080000, v37
	v_cvt_pk_bf16_f32 v36, v36, s0
	v_add_f32_e32 v49, 0xc3080000, v49
	v_cvt_pk_bf16_f32 v37, v37, s0
	v_lshlrev_b32_e32 v36, 16, v36
	;;#ASMSTART
	v_and_or_b32 v42, v42, v33, v34
	;;#ASMEND
	v_cvt_pk_bf16_f32 v49, v49, s0
	v_lshlrev_b32_e32 v37, 16, v37
	v_lshlrev_b32_e32 v41, 16, v42
	v_fma_f32 v36, v36, v7, v52
	v_fma_f32 v37, v37, v7, v52
	v_add_f32_e32 v41, 0xc3080000, v41
	v_cvt_pk_bf16_f32 v53, v36, s0
	v_lshlrev_b32_e32 v36, 16, v49
	v_and_b32_e32 v48, 0xffff0000, v40
	v_lshlrev_b32_e32 v40, 16, v40
	v_cvt_pk_bf16_f32 v51, v37, s0
	v_and_b32_e32 v37, 0xffff0000, v42
	v_cvt_pk_bf16_f32 v41, v41, s0
	v_fma_f32 v36, v36, v7, v52
	v_add_f32_e32 v40, 0xc3080000, v40
	v_add_f32_e32 v37, 0xc3080000, v37
	v_cvt_pk_bf16_f32 v49, v36, s0
	v_lshlrev_b32_e32 v36, 16, v41
	v_and_b32_e32 v47, 0xffff0000, v39
	v_cvt_pk_bf16_f32 v40, v40, s0
	v_cvt_pk_bf16_f32 v37, v37, s0
	v_fma_f32 v36, v36, v7, v52
	v_and_b32_e32 v46, 0xffff0000, v38
	v_lshlrev_b32_e32 v38, 16, v38
	v_add_f32_e32 v47, 0xc3080000, v47
	v_add_f32_e32 v48, 0xc3080000, v48
	v_lshlrev_b32_e32 v40, 16, v40
	v_cvt_pk_bf16_f32 v54, v36, s0
	v_lshlrev_b32_e32 v36, 16, v37
	v_add_f32_e32 v46, 0xc3080000, v46
	v_add_f32_e32 v38, 0xc3080000, v38
	v_cvt_pk_bf16_f32 v47, v47, s0
	v_cvt_pk_bf16_f32 v48, v48, s0
	v_fma_f32 v40, v40, v7, v52
	v_fma_f32 v36, v36, v7, v52
	v_cvt_pk_bf16_f32 v46, v46, s0
	v_cvt_pk_bf16_f32 v38, v38, s0
	v_lshlrev_b32_e32 v42, 16, v47
	v_cvt_pk_bf16_f32 v47, v40, s0
	v_lshlrev_b32_e32 v40, 16, v48
	v_cvt_pk_bf16_f32 v55, v36, s0
	s_waitcnt vmcnt(0)
	;;#ASMSTART
	v_and_or_b32 v36, v24, v33, v34
	;;#ASMEND
	v_lshlrev_b32_e32 v38, 16, v38
	v_lshlrev_b32_e32 v46, 16, v46
	v_fma_f32 v40, v40, v7, v52
	v_and_b32_e32 v41, 0xffff0000, v36
	v_lshlrev_b32_e32 v36, 16, v36
	v_fma_f32 v38, v38, v7, v52
	v_fma_f32 v46, v46, v7, v52
	v_cvt_pk_bf16_f32 v48, v40, s0
	v_lshrrev_b32_e32 v37, 4, v24
	v_lshrrev_b32_e32 v40, 8, v24
	;; [unrolled: 1-line block ×3, first 2 shown]
	v_add_f32_e32 v36, 0xc3080000, v36
	v_cvt_pk_bf16_f32 v38, v38, s0
	v_cvt_pk_bf16_f32 v46, v46, s0
	;;#ASMSTART
	v_and_or_b32 v37, v37, v33, v34
	;;#ASMEND
	;;#ASMSTART
	v_and_or_b32 v40, v40, v33, v34
	;;#ASMEND
	;; [unrolled: 3-line block ×3, first 2 shown]
	v_add_f32_e32 v41, 0xc3080000, v41
	v_cvt_pk_bf16_f32 v57, v36, s0
	v_and_b32_e32 v36, 0xffff0000, v37
	v_add_f32_e32 v45, 0xc3080000, v45
	v_cvt_pk_bf16_f32 v56, v41, s0
	v_add_f32_e32 v36, 0xc3080000, v36
	v_perm_b32 v41, v46, v38, s2
	v_and_b32_e32 v46, 0xffff0000, v24
	v_lshlrev_b32_e32 v24, 16, v24
	v_lshlrev_b32_e32 v39, 16, v39
	v_add_f32_e32 v44, 0xc3080000, v44
	v_cvt_pk_bf16_f32 v45, v45, s0
	v_fma_f32 v35, v35, v7, v52
	v_fma_f32 v43, v43, v7, v52
	v_cvt_pk_bf16_f32 v58, v36, s0
	v_lshlrev_b32_e32 v36, 16, v37
	v_add_f32_e32 v24, 0xc3080000, v24
	v_add_f32_e32 v39, 0xc3080000, v39
	v_cvt_pk_bf16_f32 v44, v44, s0
	v_lshlrev_b32_e32 v45, 16, v45
	v_cvt_pk_bf16_f32 v35, v35, s0
	v_cvt_pk_bf16_f32 v43, v43, s0
	v_add_f32_e32 v36, 0xc3080000, v36
	v_cvt_pk_bf16_f32 v24, v24, s0
	v_cvt_pk_bf16_f32 v39, v39, s0
	v_lshlrev_b32_e32 v44, 16, v44
	v_fma_f32 v45, v45, v7, v52
	v_cvt_pk_bf16_f32 v59, v36, s0
	v_perm_b32 v36, v43, v35, s2
	v_and_b32_e32 v35, 0xffff0000, v40
	v_lshlrev_b32_e32 v40, 16, v40
	v_add_f32_e32 v46, 0xc3080000, v46
	v_lshlrev_b32_e32 v24, 16, v24
	v_fma_f32 v44, v44, v7, v52
	v_cvt_pk_bf16_f32 v45, v45, s0
	v_lshlrev_b32_e32 v39, 16, v39
	v_add_f32_e32 v40, 0xc3080000, v40
	v_cvt_pk_bf16_f32 v46, v46, s0
	v_fma_f32 v24, v24, v7, v52
	v_cvt_pk_bf16_f32 v44, v44, s0
	v_fma_f32 v39, v39, v7, v52
	v_fma_f32 v42, v42, v7, v52
	v_cvt_pk_bf16_f32 v43, v40, s0
	v_perm_b32 v40, v45, v51, s2
	v_lshrrev_b32_e32 v38, 4, v25
	v_lshlrev_b32_e32 v51, 16, v56
	v_lshlrev_b32_e32 v56, 16, v59
	v_cvt_pk_bf16_f32 v59, v24, s0
	v_lshlrev_b32_e32 v24, 16, v46
	v_cvt_pk_bf16_f32 v39, v39, s0
	v_cvt_pk_bf16_f32 v42, v42, s0
	v_perm_b32 v37, v44, v50, s2
	;;#ASMSTART
	v_and_or_b32 v44, v25, v33, v34
	;;#ASMEND
	v_fma_f32 v24, v24, v7, v52
	;;#ASMSTART
	v_and_or_b32 v38, v38, v33, v34
	;;#ASMEND
	v_lshlrev_b32_e32 v43, 16, v43
	v_cvt_pk_bf16_f32 v60, v24, s0
	v_perm_b32 v24, v42, v39, s2
	v_and_b32_e32 v39, 0xffff0000, v44
	v_lshlrev_b32_e32 v42, 16, v44
	v_and_b32_e32 v44, 0xffff0000, v38
	v_lshlrev_b32_e32 v38, 16, v38
	v_fma_f32 v43, v43, v7, v52
	v_add_f32_e32 v38, 0xc3080000, v38
	v_lshrrev_b32_e32 v45, 8, v25
	v_lshrrev_b32_e32 v25, 12, v25
	v_lshlrev_b32_e32 v50, 16, v57
	v_lshlrev_b32_e32 v57, 16, v58
	v_cvt_pk_bf16_f32 v58, v43, s0
	;;#ASMSTART
	v_and_or_b32 v43, v45, v33, v34
	;;#ASMEND
	v_add_f32_e32 v39, 0xc3080000, v39
	v_add_f32_e32 v42, 0xc3080000, v42
	v_cvt_pk_bf16_f32 v38, v38, s0
	;;#ASMSTART
	v_and_or_b32 v46, v25, v33, v34
	;;#ASMEND
	v_perm_b32 v25, v48, v47, s2
	v_cvt_pk_bf16_f32 v39, v39, s0
	v_cvt_pk_bf16_f32 v42, v42, s0
	v_add_f32_e32 v44, 0xc3080000, v44
	v_and_b32_e32 v48, 0xffff0000, v43
	v_lshlrev_b32_e32 v43, 16, v43
	v_lshlrev_b32_e32 v38, 16, v38
	v_cvt_pk_bf16_f32 v47, v44, s0
	v_add_f32_e32 v43, 0xc3080000, v43
	v_lshlrev_b32_e32 v42, 16, v42
	v_lshlrev_b32_e32 v39, 16, v39
	v_fma_f32 v38, v38, v7, v52
	v_perm_b32 v44, v49, v53, s2
	v_add_f32_e32 v48, 0xc3080000, v48
	v_cvt_pk_bf16_f32 v43, v43, s0
	v_and_b32_e32 v49, 0xffff0000, v46
	v_lshlrev_b32_e32 v46, 16, v46
	v_fma_f32 v42, v42, v7, v52
	v_fma_f32 v39, v39, v7, v52
	v_cvt_pk_bf16_f32 v61, v38, s0
	v_lshlrev_b32_e32 v38, 16, v47
	v_add_f32_e32 v35, 0xc3080000, v35
	v_perm_b32 v45, v55, v54, s2
	v_cvt_pk_bf16_f32 v48, v48, s0
	v_add_f32_e32 v46, 0xc3080000, v46
	v_cvt_pk_bf16_f32 v54, v42, s0
	v_cvt_pk_bf16_f32 v55, v39, s0
	v_fma_f32 v42, v38, v7, v52
	v_mfma_f32_16x16x16_bf16 v[36:39], v[12:13], v[36:37], 0
	v_lshlrev_b32_e32 v12, 16, v43
	v_cvt_pk_bf16_f32 v35, v35, s0
	v_cvt_pk_bf16_f32 v46, v46, s0
	;; [unrolled: 1-line block ×3, first 2 shown]
	v_fma_f32 v42, v12, v7, v52
	v_mfma_f32_16x16x16_bf16 v[10:13], v[10:11], v[40:41], 0
	v_lshlrev_b32_e32 v40, 16, v48
	v_fma_f32 v50, v50, v7, v52
	v_fma_f32 v51, v51, v7, v52
	;; [unrolled: 1-line block ×4, first 2 shown]
	v_lshlrev_b32_e32 v35, 16, v35
	v_add_f32_e32 v49, 0xc3080000, v49
	v_cvt_pk_bf16_f32 v63, v42, s0
	v_fma_f32 v47, v40, v7, v52
	v_mfma_f32_16x16x16_bf16 v[40:43], v[8:9], v[24:25], 0
	v_lshlrev_b32_e32 v8, 16, v46
	v_cvt_pk_bf16_f32 v50, v50, s0
	v_cvt_pk_bf16_f32 v51, v51, s0
	v_cvt_pk_bf16_f32 v56, v56, s0
	v_cvt_pk_bf16_f32 v57, v57, s0
	v_fma_f32 v35, v35, v7, v52
	v_cvt_pk_bf16_f32 v53, v49, s0
	v_fma_f32 v8, v8, v7, v52
	v_cvt_pk_bf16_f32 v35, v35, s0
	v_cvt_pk_bf16_f32 v24, v47, s0
	v_mfma_f32_16x16x16_bf16 v[44:47], v[14:15], v[44:45], 0
	v_cvt_pk_bf16_f32 v25, v8, s0
	v_perm_b32 v8, v51, v50, s2
	v_perm_b32 v9, v57, v56, s2
	v_lshlrev_b32_e32 v14, 16, v53
	v_fmac_f32_e32 v52, v14, v7
	v_mfma_f32_16x16x16_bf16 v[48:51], v[20:21], v[8:9], 0
	v_perm_b32 v8, v35, v58, s2
	v_perm_b32 v9, v60, v59, s2
	v_pk_add_f32 v[2:3], v[2:3], v[38:39]
	v_pk_add_f32 v[0:1], v[0:1], v[36:37]
	v_mfma_f32_16x16x16_bf16 v[18:21], v[18:19], v[8:9], 0
	v_perm_b32 v8, v55, v54, s2
	v_perm_b32 v9, v62, v61, s2
	v_cvt_pk_bf16_f32 v7, v52, s0
	v_pk_add_f32 v[2:3], v[2:3], v[12:13]
	v_pk_add_f32 v[0:1], v[0:1], v[10:11]
	v_mfma_f32_16x16x16_bf16 v[14:17], v[16:17], v[8:9], 0
	v_perm_b32 v8, v24, v63, s2
	v_perm_b32 v9, v7, v25, s2
	v_pk_add_f32 v[2:3], v[2:3], v[42:43]
	v_pk_add_f32 v[0:1], v[0:1], v[40:41]
	v_mfma_f32_16x16x16_bf16 v[22:25], v[22:23], v[8:9], 0
	v_add_f32_e64 v2, v2, v46
	v_add_f32_e64 v3, v3, v47
	v_pk_add_f32 v[0:1], v[0:1], v[44:45]
	v_pk_add_f32 v[2:3], v[2:3], v[50:51]
	;; [unrolled: 1-line block ×7, first 2 shown]
	v_cmp_le_i32_e64 s[0:1], s15, v31
	v_pk_add_f32 v[2:3], v[2:3], v[24:25]
	v_pk_add_f32 v[0:1], v[0:1], v[22:23]
	s_or_b64 s[22:23], s[0:1], s[22:23]
	s_andn2_b64 exec, exec, s[22:23]
	s_cbranch_execz .LBB7_11
.LBB7_3:                                ; =>This Inner Loop Header: Depth=1
	v_ashrrev_i32_e32 v7, 31, v6
	v_lshl_add_u64 v[24:25], v[6:7], 1, v[4:5]
	v_mov_b32_e32 v8, 0
	v_mov_b32_e32 v12, 0
	;; [unrolled: 1-line block ×5, first 2 shown]
	s_and_saveexec_b64 s[0:1], vcc
	s_cbranch_execz .LBB7_5
; %bb.4:                                ;   in Loop: Header=BB7_3 Depth=1
	global_load_dwordx2 v[12:13], v[24:25], off
	global_load_dwordx2 v[10:11], v[24:25], off offset:32
.LBB7_5:                                ;   in Loop: Header=BB7_3 Depth=1
	s_or_b64 exec, exec, s[0:1]
	v_mov_b32_e32 v9, 0
	v_mov_b32_e32 v14, 0
	;; [unrolled: 1-line block ×3, first 2 shown]
	s_and_saveexec_b64 s[0:1], vcc
	s_cbranch_execz .LBB7_7
; %bb.6:                                ;   in Loop: Header=BB7_3 Depth=1
	global_load_dwordx2 v[8:9], v[24:25], off offset:64
	global_load_dwordx2 v[14:15], v[24:25], off offset:96
.LBB7_7:                                ;   in Loop: Header=BB7_3 Depth=1
	s_or_b64 exec, exec, s[0:1]
	v_mov_b32_e32 v16, 0
	v_mov_b32_e32 v20, 0
	;; [unrolled: 1-line block ×5, first 2 shown]
	s_and_saveexec_b64 s[0:1], vcc
	s_cbranch_execz .LBB7_9
; %bb.8:                                ;   in Loop: Header=BB7_3 Depth=1
	global_load_dwordx2 v[20:21], v[24:25], off offset:128
	global_load_dwordx2 v[18:19], v[24:25], off offset:160
.LBB7_9:                                ;   in Loop: Header=BB7_3 Depth=1
	s_or_b64 exec, exec, s[0:1]
	v_mov_b32_e32 v17, 0
	v_mov_b32_e32 v22, 0
	;; [unrolled: 1-line block ×3, first 2 shown]
	s_and_saveexec_b64 s[0:1], vcc
	s_cbranch_execz .LBB7_2
; %bb.10:                               ;   in Loop: Header=BB7_3 Depth=1
	global_load_dwordx2 v[16:17], v[24:25], off offset:192
	global_load_dwordx2 v[22:23], v[24:25], off offset:224
	s_branch .LBB7_2
.LBB7_11:
	s_or_b64 exec, exec, s[22:23]
.LBB7_12:
	s_or_b64 exec, exec, s[20:21]
	v_lshl_add_u32 v14, v28, 2, s15
	v_cmp_gt_u32_e32 vcc, s7, v14
	s_and_saveexec_b64 s[0:1], vcc
	s_cbranch_execz .LBB7_18
; %bb.13:
	v_lshl_or_b32 v8, s4, 4, v29
	v_and_b32_e32 v4, 0xfc, v27
	v_mul_lo_u32 v6, s14, v8
	v_lshl_add_u32 v4, v14, 4, v4
	v_ashrrev_i32_e32 v7, 31, v6
	v_lshl_add_u64 v[6:7], v[6:7], 1, s[16:17]
	v_ashrrev_i32_e32 v5, 31, v4
	v_lshl_add_u64 v[12:13], v[4:5], 1, v[6:7]
	v_cmp_gt_i32_e32 vcc, s12, v8
	v_mov_b32_e32 v4, 0
	v_mov_b32_e32 v8, 0
	;; [unrolled: 1-line block ×5, first 2 shown]
	s_and_saveexec_b64 s[14:15], vcc
	s_cbranch_execz .LBB7_15
; %bb.14:
	global_load_dwordx2 v[8:9], v[12:13], off
	global_load_dwordx2 v[6:7], v[12:13], off offset:32
.LBB7_15:
	s_or_b64 exec, exec, s[14:15]
	v_mov_b32_e32 v5, 0
	v_mov_b32_e32 v10, 0
	v_mov_b32_e32 v11, 0
	s_and_saveexec_b64 s[14:15], vcc
	s_cbranch_execz .LBB7_17
; %bb.16:
	global_load_dwordx2 v[4:5], v[12:13], off offset:64
	global_load_dwordx2 v[10:11], v[12:13], off offset:96
.LBB7_17:
	s_or_b64 exec, exec, s[14:15]
	s_lshr_b32 s2, s5, 30
	s_add_i32 s2, s7, s2
	v_ashrrev_i32_e32 v16, 31, v14
	s_lshr_b32 s2, s2, 2
	v_lshrrev_b32_e32 v16, 29, v16
	s_mul_i32 s2, s2, s3
	v_lshrrev_b32_e32 v12, 2, v14
	v_add_u32_e32 v14, v14, v16
	v_add_u32_e32 v12, s2, v12
	v_lshrrev_b32_e32 v14, 3, v14
	v_lshl_add_u32 v12, v12, 7, v30
	v_mul_lo_u32 v14, s6, v14
	v_ashrrev_i32_e32 v13, 31, v12
	v_lshl_or_b32 v15, s3, 4, v29
	v_lshlrev_b32_e32 v14, 4, v14
	v_lshl_add_u64 v[12:13], v[12:13], 2, s[18:19]
	v_add_lshl_u32 v14, v15, v14, 1
	global_load_dwordx2 v[12:13], v[12:13], off
	v_ashrrev_i32_e32 v15, 31, v14
	v_lshl_add_u64 v[14:15], v[14:15], 1, s[8:9]
	global_load_dword v14, v[14:15], off
	v_mov_b32_e32 v15, 0xf000f
	v_mov_b32_e32 v16, 0x43004300
	s_waitcnt vmcnt(1)
	;;#ASMSTART
	v_and_or_b32 v17, v12, v15, v16
	;;#ASMEND
	s_mov_b32 s2, 0x5040100
	v_and_b32_e32 v23, 0xffff0000, v17
	v_lshlrev_b32_e32 v17, 16, v17
	v_add_f32_e32 v17, 0xc3080000, v17
	v_cvt_pk_bf16_f32 v17, v17, s0
	v_lshlrev_b32_e32 v17, 16, v17
	v_lshrrev_b32_e32 v18, 4, v12
	v_lshrrev_b32_e32 v19, 8, v12
	;; [unrolled: 1-line block ×4, first 2 shown]
	;;#ASMSTART
	v_and_or_b32 v18, v18, v15, v16
	;;#ASMEND
	;;#ASMSTART
	v_and_or_b32 v19, v19, v15, v16
	;;#ASMEND
	;; [unrolled: 3-line block ×3, first 2 shown]
	v_lshrrev_b32_e32 v21, 8, v13
	v_lshrrev_b32_e32 v22, 12, v13
	s_waitcnt vmcnt(0)
	v_and_b32_e32 v24, 0xffff0000, v14
	v_lshlrev_b32_e32 v25, 16, v14
	;;#ASMSTART
	v_and_or_b32 v13, v13, v15, v16
	;;#ASMEND
	;;#ASMSTART
	v_and_or_b32 v14, v20, v15, v16
	;;#ASMEND
	;;#ASMSTART
	v_and_or_b32 v20, v21, v15, v16
	;;#ASMEND
	;;#ASMSTART
	v_and_or_b32 v15, v22, v15, v16
	;;#ASMEND
	v_add_f32_e32 v16, 0xc3080000, v23
	v_and_b32_e32 v23, 0xffff0000, v12
	v_lshlrev_b32_e32 v12, 16, v12
	v_add_f32_e32 v12, 0xc3080000, v12
	v_cvt_pk_bf16_f32 v12, v12, s0
	v_lshlrev_b32_e32 v12, 16, v12
	v_fma_f32 v12, v12, v25, v24
	v_cvt_pk_bf16_f32 v31, v12, s0
	v_lshlrev_b32_e32 v12, 16, v14
	v_add_f32_e32 v12, 0xc3080000, v12
	v_and_b32_e32 v30, 0xffff0000, v14
	v_cvt_pk_bf16_f32 v12, v12, s0
	v_add_f32_e32 v30, 0xc3080000, v30
	v_lshlrev_b32_e32 v12, 16, v12
	v_cvt_pk_bf16_f32 v30, v30, s0
	v_and_b32_e32 v14, 0xffff0000, v20
	v_lshlrev_b32_e32 v20, 16, v20
	v_fma_f32 v12, v12, v25, v24
	v_add_f32_e32 v20, 0xc3080000, v20
	v_cvt_pk_bf16_f32 v34, v12, s0
	v_lshlrev_b32_e32 v12, 16, v30
	v_and_b32_e32 v29, 0xffff0000, v13
	v_lshlrev_b32_e32 v13, 16, v13
	v_cvt_pk_bf16_f32 v20, v20, s0
	v_fma_f32 v12, v12, v25, v24
	v_and_b32_e32 v21, 0xffff0000, v18
	v_lshlrev_b32_e32 v18, 16, v18
	v_add_f32_e32 v13, 0xc3080000, v13
	v_add_f32_e32 v14, 0xc3080000, v14
	v_cvt_pk_bf16_f32 v30, v12, s0
	v_lshlrev_b32_e32 v12, 16, v20
	v_and_b32_e32 v22, 0xffff0000, v19
	v_lshlrev_b32_e32 v19, 16, v19
	v_add_f32_e32 v21, 0xc3080000, v21
	v_add_f32_e32 v18, 0xc3080000, v18
	v_cvt_pk_bf16_f32 v13, v13, s0
	v_cvt_pk_bf16_f32 v14, v14, s0
	v_and_b32_e32 v32, 0xffff0000, v15
	v_lshlrev_b32_e32 v15, 16, v15
	v_fma_f32 v12, v12, v25, v24
	v_cvt_pk_bf16_f32 v16, v16, s0
	v_add_f32_e32 v22, 0xc3080000, v22
	v_add_f32_e32 v19, 0xc3080000, v19
	;; [unrolled: 1-line block ×4, first 2 shown]
	v_cvt_pk_bf16_f32 v21, v21, s0
	v_cvt_pk_bf16_f32 v18, v18, s0
	v_add_f32_e32 v15, 0xc3080000, v15
	v_lshlrev_b32_e32 v13, 16, v13
	v_cvt_pk_bf16_f32 v20, v12, s0
	v_lshlrev_b32_e32 v12, 16, v14
	v_cvt_pk_bf16_f32 v22, v22, s0
	v_cvt_pk_bf16_f32 v19, v19, s0
	;; [unrolled: 1-line block ×3, first 2 shown]
	v_lshlrev_b32_e32 v16, 16, v16
	v_cvt_pk_bf16_f32 v29, v29, s0
	v_lshlrev_b32_e32 v18, 16, v18
	v_lshlrev_b32_e32 v21, 16, v21
	v_cvt_pk_bf16_f32 v15, v15, s0
	v_fma_f32 v13, v13, v25, v24
	v_fma_f32 v12, v12, v25, v24
	;; [unrolled: 1-line block ×4, first 2 shown]
	v_lshlrev_b32_e32 v19, 16, v19
	v_lshlrev_b32_e32 v22, 16, v22
	v_lshlrev_b32_e32 v23, 16, v23
	v_fma_f32 v18, v18, v25, v24
	v_fma_f32 v21, v21, v25, v24
	v_add_f32_e32 v32, 0xc3080000, v32
	v_cvt_pk_bf16_f32 v33, v13, s0
	v_lshlrev_b32_e32 v13, 16, v29
	v_cvt_pk_bf16_f32 v35, v12, s0
	v_lshlrev_b32_e32 v12, 16, v15
	v_cvt_pk_bf16_f32 v17, v17, s0
	v_cvt_pk_bf16_f32 v16, v16, s0
	v_fma_f32 v19, v19, v25, v24
	v_fma_f32 v22, v22, v25, v24
	;; [unrolled: 1-line block ×3, first 2 shown]
	v_cvt_pk_bf16_f32 v18, v18, s0
	v_cvt_pk_bf16_f32 v21, v21, s0
	;; [unrolled: 1-line block ×3, first 2 shown]
	v_fma_f32 v13, v13, v25, v24
	v_fma_f32 v12, v12, v25, v24
	v_cvt_pk_bf16_f32 v19, v19, s0
	v_cvt_pk_bf16_f32 v22, v22, s0
	;; [unrolled: 1-line block ×5, first 2 shown]
	v_perm_b32 v12, v16, v17, s2
	v_perm_b32 v13, v21, v18, s2
	v_lshlrev_b32_e32 v16, 16, v32
	v_fmac_f32_e32 v24, v16, v25
	v_mfma_f32_16x16x16_bf16 v[12:15], v[8:9], v[12:13], 0
	v_perm_b32 v8, v22, v19, s2
	v_perm_b32 v9, v23, v31, s2
	;; [unrolled: 1-line block ×4, first 2 shown]
	v_mfma_f32_16x16x16_bf16 v[6:9], v[6:7], v[8:9], 0
	s_nop 2
	v_add_f32_e64 v2, v2, v14
	v_add_f32_e64 v3, v3, v15
	v_pk_add_f32 v[0:1], v[0:1], v[12:13]
	v_mfma_f32_16x16x16_bf16 v[16:19], v[4:5], v[16:17], 0
	v_cvt_pk_bf16_f32 v5, v24, s0
	v_perm_b32 v4, v35, v20, s2
	v_perm_b32 v5, v5, v36, s2
	v_pk_add_f32 v[2:3], v[2:3], v[8:9]
	v_pk_add_f32 v[0:1], v[0:1], v[6:7]
	v_mfma_f32_16x16x16_bf16 v[20:23], v[10:11], v[4:5], 0
	s_nop 1
	v_add_f32_e64 v2, v2, v18
	v_add_f32_e64 v3, v3, v19
	v_pk_add_f32 v[0:1], v[0:1], v[16:17]
	s_nop 2
	v_pk_add_f32 v[2:3], v[2:3], v[22:23]
	v_pk_add_f32 v[0:1], v[0:1], v[20:21]
.LBB7_18:
	s_or_b64 exec, exec, s[0:1]
	v_lshlrev_b32_e32 v29, 4, v26
	v_lshl_add_u32 v4, v28, 10, v29
	v_cmp_eq_u32_e32 vcc, 0, v28
	ds_write_b128 v4, v[0:3]
	s_waitcnt lgkmcnt(0)
	s_barrier
	s_and_saveexec_b64 s[0:1], vcc
	s_cbranch_execz .LBB7_27
; %bb.19:
	v_add_u32_e32 v6, 12, v29
	v_add_u32_e32 v4, 0x404, v29
	v_add_u32_e32 v5, 0x804, v29
	v_add_u32_e32 v7, 0xc04, v29
	v_add_u32_e32 v8, 0x1004, v29
	v_add_u32_e32 v22, 0x1804, v29
	v_add_u32_e32 v24, 0x1c04, v29
	ds_read2st64_b32 v[0:1], v6 offset1:4
	ds_read2st64_b32 v[2:3], v6 offset0:8 offset1:12
	ds_read2_b32 v[10:11], v29 offset0:1 offset1:2
	ds_read2_b32 v[12:13], v4 offset1:1
	ds_read2_b32 v[14:15], v5 offset1:1
	;; [unrolled: 1-line block ×3, first 2 shown]
	ds_read2st64_b32 v[4:5], v6 offset0:16 offset1:20
	v_add_u32_e32 v9, 0x1404, v29
	ds_read2st64_b32 v[6:7], v6 offset0:24 offset1:28
	ds_read2_b32 v[18:19], v8 offset1:1
	ds_read2_b32 v[20:21], v9 offset1:1
	;; [unrolled: 1-line block ×4, first 2 shown]
	v_and_b32_e32 v8, 0xfc, v27
	v_lshl_add_u32 v27, s4, 4, v8
	s_lshl_b32 s0, s3, 4
	v_mul_lo_u32 v30, s13, v27
	v_and_or_b32 v8, v26, 15, s0
	v_ashrrev_i32_e32 v31, 31, v30
	v_lshl_add_u64 v[30:31], v[30:31], 1, s[10:11]
	v_ashrrev_i32_e32 v9, 31, v8
	v_lshl_add_u64 v[8:9], v[8:9], 1, v[30:31]
	v_cmp_gt_i32_e32 vcc, s12, v27
	s_and_saveexec_b64 s[0:1], vcc
	s_cbranch_execz .LBB7_21
; %bb.20:
	ds_read2st64_b32 v[30:31], v29 offset1:4
	ds_read2st64_b32 v[32:33], v29 offset0:8 offset1:12
	ds_read2st64_b32 v[34:35], v29 offset0:16 offset1:20
	;; [unrolled: 1-line block ×3, first 2 shown]
	s_waitcnt lgkmcnt(3)
	v_add_f32_e32 v26, 0, v30
	v_add_f32_e32 v26, v26, v31
	s_waitcnt lgkmcnt(2)
	v_add_f32_e32 v26, v26, v32
	v_add_f32_e32 v26, v26, v33
	;; [unrolled: 3-line block ×4, first 2 shown]
	v_cvt_pk_bf16_f32 v26, v26, s0
	global_store_short v[8:9], v26, off
.LBB7_21:
	s_or_b64 exec, exec, s[0:1]
	v_or_b32_e32 v26, 1, v27
	v_cmp_gt_i32_e32 vcc, s12, v26
	s_and_saveexec_b64 s[0:1], vcc
	s_cbranch_execz .LBB7_23
; %bb.22:
	s_waitcnt lgkmcnt(9)
	v_add_f32_e32 v10, 0, v10
	s_waitcnt lgkmcnt(8)
	v_add_f32_e32 v10, v10, v12
	;; [unrolled: 2-line block ×8, first 2 shown]
	s_ashr_i32 s3, s13, 31
	s_mov_b32 s2, s13
	v_cvt_pk_bf16_f32 v10, v10, s0
	v_lshl_add_u64 v[28:29], s[2:3], 1, v[8:9]
	global_store_short v[28:29], v10, off
.LBB7_23:
	s_or_b64 exec, exec, s[0:1]
	s_waitcnt lgkmcnt(9)
	v_or_b32_e32 v10, 2, v27
	v_cmp_gt_i32_e32 vcc, s12, v10
	s_and_saveexec_b64 s[0:1], vcc
	s_cbranch_execz .LBB7_25
; %bb.24:
	v_add_f32_e32 v10, 0, v11
	s_waitcnt lgkmcnt(8)
	v_add_f32_e32 v10, v10, v13
	s_waitcnt lgkmcnt(7)
	;; [unrolled: 2-line block ×6, first 2 shown]
	v_add_f32_e32 v10, v10, v23
	s_lshl_b32 s2, s13, 1
	s_waitcnt lgkmcnt(0)
	v_add_f32_e32 v10, v10, v25
	s_ashr_i32 s3, s2, 31
	v_cvt_pk_bf16_f32 v12, v10, s0
	v_lshl_add_u64 v[10:11], s[2:3], 1, v[8:9]
	global_store_short v[10:11], v12, off
.LBB7_25:
	s_or_b64 exec, exec, s[0:1]
	v_or_b32_e32 v10, 3, v27
	v_cmp_gt_i32_e32 vcc, s12, v10
	s_and_b64 exec, exec, vcc
	s_cbranch_execz .LBB7_27
; %bb.26:
	v_add_f32_e32 v0, 0, v0
	v_add_f32_e32 v0, v0, v1
	;; [unrolled: 1-line block ×4, first 2 shown]
	s_waitcnt lgkmcnt(5)
	v_add_f32_e32 v0, v0, v4
	v_add_f32_e32 v0, v0, v5
	s_waitcnt lgkmcnt(4)
	v_add_f32_e32 v0, v0, v6
	v_add_f32_e32 v0, v0, v7
	v_cvt_pk_bf16_f32 v2, v0, s0
	s_mul_i32 s0, s13, 3
	s_ashr_i32 s1, s0, 31
	v_lshl_add_u64 v[0:1], s[0:1], 1, v[8:9]
	global_store_short v[0:1], v2, off
.LBB7_27:
	s_endpgm
	.section	.rodata,"a",@progbits
	.p2align	6, 0x0
	.amdhsa_kernel _ZN2at6native30tinygemm_m16n8k16_chunk_kernelINS0_10ALayout_RMILNS0_14KReductionTypeE0EEENS0_15BLayout_TC_int4ILi4ELi128EEES4_Li8ELi8EEEvPKvS8_S8_Pviiiiii
		.amdhsa_group_segment_fixed_size 8192
		.amdhsa_private_segment_fixed_size 0
		.amdhsa_kernarg_size 56
		.amdhsa_user_sgpr_count 2
		.amdhsa_user_sgpr_dispatch_ptr 0
		.amdhsa_user_sgpr_queue_ptr 0
		.amdhsa_user_sgpr_kernarg_segment_ptr 1
		.amdhsa_user_sgpr_dispatch_id 0
		.amdhsa_user_sgpr_kernarg_preload_length 0
		.amdhsa_user_sgpr_kernarg_preload_offset 0
		.amdhsa_user_sgpr_private_segment_size 0
		.amdhsa_uses_dynamic_stack 0
		.amdhsa_enable_private_segment 0
		.amdhsa_system_sgpr_workgroup_id_x 1
		.amdhsa_system_sgpr_workgroup_id_y 1
		.amdhsa_system_sgpr_workgroup_id_z 1
		.amdhsa_system_sgpr_workgroup_info 0
		.amdhsa_system_vgpr_workitem_id 1
		.amdhsa_next_free_vgpr 64
		.amdhsa_next_free_sgpr 26
		.amdhsa_accum_offset 64
		.amdhsa_reserve_vcc 1
		.amdhsa_float_round_mode_32 0
		.amdhsa_float_round_mode_16_64 0
		.amdhsa_float_denorm_mode_32 3
		.amdhsa_float_denorm_mode_16_64 3
		.amdhsa_dx10_clamp 1
		.amdhsa_ieee_mode 1
		.amdhsa_fp16_overflow 0
		.amdhsa_tg_split 0
		.amdhsa_exception_fp_ieee_invalid_op 0
		.amdhsa_exception_fp_denorm_src 0
		.amdhsa_exception_fp_ieee_div_zero 0
		.amdhsa_exception_fp_ieee_overflow 0
		.amdhsa_exception_fp_ieee_underflow 0
		.amdhsa_exception_fp_ieee_inexact 0
		.amdhsa_exception_int_div_zero 0
	.end_amdhsa_kernel
	.section	.text._ZN2at6native30tinygemm_m16n8k16_chunk_kernelINS0_10ALayout_RMILNS0_14KReductionTypeE0EEENS0_15BLayout_TC_int4ILi4ELi128EEES4_Li8ELi8EEEvPKvS8_S8_Pviiiiii,"axG",@progbits,_ZN2at6native30tinygemm_m16n8k16_chunk_kernelINS0_10ALayout_RMILNS0_14KReductionTypeE0EEENS0_15BLayout_TC_int4ILi4ELi128EEES4_Li8ELi8EEEvPKvS8_S8_Pviiiiii,comdat
.Lfunc_end7:
	.size	_ZN2at6native30tinygemm_m16n8k16_chunk_kernelINS0_10ALayout_RMILNS0_14KReductionTypeE0EEENS0_15BLayout_TC_int4ILi4ELi128EEES4_Li8ELi8EEEvPKvS8_S8_Pviiiiii, .Lfunc_end7-_ZN2at6native30tinygemm_m16n8k16_chunk_kernelINS0_10ALayout_RMILNS0_14KReductionTypeE0EEENS0_15BLayout_TC_int4ILi4ELi128EEES4_Li8ELi8EEEvPKvS8_S8_Pviiiiii
                                        ; -- End function
	.set _ZN2at6native30tinygemm_m16n8k16_chunk_kernelINS0_10ALayout_RMILNS0_14KReductionTypeE0EEENS0_15BLayout_TC_int4ILi4ELi128EEES4_Li8ELi8EEEvPKvS8_S8_Pviiiiii.num_vgpr, 64
	.set _ZN2at6native30tinygemm_m16n8k16_chunk_kernelINS0_10ALayout_RMILNS0_14KReductionTypeE0EEENS0_15BLayout_TC_int4ILi4ELi128EEES4_Li8ELi8EEEvPKvS8_S8_Pviiiiii.num_agpr, 0
	.set _ZN2at6native30tinygemm_m16n8k16_chunk_kernelINS0_10ALayout_RMILNS0_14KReductionTypeE0EEENS0_15BLayout_TC_int4ILi4ELi128EEES4_Li8ELi8EEEvPKvS8_S8_Pviiiiii.numbered_sgpr, 26
	.set _ZN2at6native30tinygemm_m16n8k16_chunk_kernelINS0_10ALayout_RMILNS0_14KReductionTypeE0EEENS0_15BLayout_TC_int4ILi4ELi128EEES4_Li8ELi8EEEvPKvS8_S8_Pviiiiii.num_named_barrier, 0
	.set _ZN2at6native30tinygemm_m16n8k16_chunk_kernelINS0_10ALayout_RMILNS0_14KReductionTypeE0EEENS0_15BLayout_TC_int4ILi4ELi128EEES4_Li8ELi8EEEvPKvS8_S8_Pviiiiii.private_seg_size, 0
	.set _ZN2at6native30tinygemm_m16n8k16_chunk_kernelINS0_10ALayout_RMILNS0_14KReductionTypeE0EEENS0_15BLayout_TC_int4ILi4ELi128EEES4_Li8ELi8EEEvPKvS8_S8_Pviiiiii.uses_vcc, 1
	.set _ZN2at6native30tinygemm_m16n8k16_chunk_kernelINS0_10ALayout_RMILNS0_14KReductionTypeE0EEENS0_15BLayout_TC_int4ILi4ELi128EEES4_Li8ELi8EEEvPKvS8_S8_Pviiiiii.uses_flat_scratch, 0
	.set _ZN2at6native30tinygemm_m16n8k16_chunk_kernelINS0_10ALayout_RMILNS0_14KReductionTypeE0EEENS0_15BLayout_TC_int4ILi4ELi128EEES4_Li8ELi8EEEvPKvS8_S8_Pviiiiii.has_dyn_sized_stack, 0
	.set _ZN2at6native30tinygemm_m16n8k16_chunk_kernelINS0_10ALayout_RMILNS0_14KReductionTypeE0EEENS0_15BLayout_TC_int4ILi4ELi128EEES4_Li8ELi8EEEvPKvS8_S8_Pviiiiii.has_recursion, 0
	.set _ZN2at6native30tinygemm_m16n8k16_chunk_kernelINS0_10ALayout_RMILNS0_14KReductionTypeE0EEENS0_15BLayout_TC_int4ILi4ELi128EEES4_Li8ELi8EEEvPKvS8_S8_Pviiiiii.has_indirect_call, 0
	.section	.AMDGPU.csdata,"",@progbits
; Kernel info:
; codeLenInByte = 4584
; TotalNumSgprs: 32
; NumVgprs: 64
; NumAgprs: 0
; TotalNumVgprs: 64
; ScratchSize: 0
; MemoryBound: 0
; FloatMode: 240
; IeeeMode: 1
; LDSByteSize: 8192 bytes/workgroup (compile time only)
; SGPRBlocks: 3
; VGPRBlocks: 7
; NumSGPRsForWavesPerEU: 32
; NumVGPRsForWavesPerEU: 64
; AccumOffset: 64
; Occupancy: 8
; WaveLimiterHint : 1
; COMPUTE_PGM_RSRC2:SCRATCH_EN: 0
; COMPUTE_PGM_RSRC2:USER_SGPR: 2
; COMPUTE_PGM_RSRC2:TRAP_HANDLER: 0
; COMPUTE_PGM_RSRC2:TGID_X_EN: 1
; COMPUTE_PGM_RSRC2:TGID_Y_EN: 1
; COMPUTE_PGM_RSRC2:TGID_Z_EN: 1
; COMPUTE_PGM_RSRC2:TIDIG_COMP_CNT: 1
; COMPUTE_PGM_RSRC3_GFX90A:ACCUM_OFFSET: 15
; COMPUTE_PGM_RSRC3_GFX90A:TG_SPLIT: 0
	.section	.text._ZN2at6native30tinygemm_m16n8k16_chunk_kernelINS0_10ALayout_RMILNS0_14KReductionTypeE0EEENS0_15BLayout_TC_int4ILi8ELi128EEES4_Li8ELi8EEEvPKvS8_S8_Pviiiiii,"axG",@progbits,_ZN2at6native30tinygemm_m16n8k16_chunk_kernelINS0_10ALayout_RMILNS0_14KReductionTypeE0EEENS0_15BLayout_TC_int4ILi8ELi128EEES4_Li8ELi8EEEvPKvS8_S8_Pviiiiii,comdat
	.protected	_ZN2at6native30tinygemm_m16n8k16_chunk_kernelINS0_10ALayout_RMILNS0_14KReductionTypeE0EEENS0_15BLayout_TC_int4ILi8ELi128EEES4_Li8ELi8EEEvPKvS8_S8_Pviiiiii ; -- Begin function _ZN2at6native30tinygemm_m16n8k16_chunk_kernelINS0_10ALayout_RMILNS0_14KReductionTypeE0EEENS0_15BLayout_TC_int4ILi8ELi128EEES4_Li8ELi8EEEvPKvS8_S8_Pviiiiii
	.globl	_ZN2at6native30tinygemm_m16n8k16_chunk_kernelINS0_10ALayout_RMILNS0_14KReductionTypeE0EEENS0_15BLayout_TC_int4ILi8ELi128EEES4_Li8ELi8EEEvPKvS8_S8_Pviiiiii
	.p2align	8
	.type	_ZN2at6native30tinygemm_m16n8k16_chunk_kernelINS0_10ALayout_RMILNS0_14KReductionTypeE0EEENS0_15BLayout_TC_int4ILi8ELi128EEES4_Li8ELi8EEEvPKvS8_S8_Pviiiiii,@function
_ZN2at6native30tinygemm_m16n8k16_chunk_kernelINS0_10ALayout_RMILNS0_14KReductionTypeE0EEENS0_15BLayout_TC_int4ILi8ELi128EEES4_Li8ELi8EEEvPKvS8_S8_Pviiiiii: ; @_ZN2at6native30tinygemm_m16n8k16_chunk_kernelINS0_10ALayout_RMILNS0_14KReductionTypeE0EEENS0_15BLayout_TC_int4ILi8ELi128EEES4_Li8ELi8EEEvPKvS8_S8_Pviiiiii
; %bb.0:
	s_load_dwordx2 s[6:7], s[0:1], 0x30
	s_load_dwordx4 s[16:19], s[0:1], 0x0
	s_load_dwordx8 s[8:15], s[0:1], 0x10
	v_bfe_u32 v30, v0, 10, 10
	v_lshlrev_b32_e32 v33, 3, v30
	s_waitcnt lgkmcnt(0)
	s_ashr_i32 s0, s7, 31
	s_lshr_b32 s0, s0, 29
	s_add_i32 s0, s7, s0
	v_and_b32_e32 v28, 0x3ff, v0
	s_ashr_i32 s5, s0, 3
	s_and_b32 s15, s0, -8
	v_lshl_add_u32 v34, s2, 6, v33
	v_mov_b32_e32 v0, 0
	v_cmp_gt_i32_e32 vcc, s15, v34
	v_mov_b32_e32 v1, v0
	v_mov_b32_e32 v2, v0
	;; [unrolled: 1-line block ×3, first 2 shown]
	s_mul_i32 s5, s5, s3
	v_and_b32_e32 v31, 15, v28
	v_lshrrev_b32_e32 v29, 2, v28
	v_lshlrev_b32_e32 v32, 2, v28
	s_and_saveexec_b64 s[20:21], vcc
	s_cbranch_execz .LBB8_12
; %bb.1:
	v_lshl_or_b32 v1, s4, 4, v31
	v_mul_lo_u32 v2, s14, v1
	v_and_b32_e32 v4, 0xfc, v29
	v_ashrrev_i32_e32 v3, 31, v2
	v_cmp_gt_i32_e32 vcc, s12, v1
	s_lshl_b32 s0, s2, 10
	v_lshlrev_b32_e32 v1, 7, v30
	v_lshl_add_u64 v[8:9], v[2:3], 1, s[16:17]
	v_lshl_or_b32 v35, s3, 4, v31
	s_lshl_b32 s24, s6, 4
	v_add3_u32 v10, s0, v1, v4
	s_mov_b64 s[22:23], 0
	v_mov_b32_e32 v36, 0xf000f
	v_mov_b32_e32 v37, 0x43004300
	s_mov_b32 s2, 0x5040100
	v_mov_b32_e32 v1, v0
	v_mov_b32_e32 v2, v0
	;; [unrolled: 1-line block ×3, first 2 shown]
	s_branch .LBB8_3
.LBB8_2:                                ;   in Loop: Header=BB8_3 Depth=1
	s_or_b64 exec, exec, s[0:1]
	v_ashrrev_i32_e32 v11, 3, v34
	v_add_u32_e32 v4, s5, v11
	v_lshl_add_u32 v4, v4, 8, v32
	v_ashrrev_i32_e32 v5, 31, v4
	v_lshl_add_u64 v[4:5], v[4:5], 2, s[18:19]
	global_load_dwordx4 v[4:7], v[4:5], off
	v_mul_lo_u32 v11, s24, v11
	v_add_lshl_u32 v38, v35, v11, 1
	v_ashrrev_i32_e32 v39, 31, v38
	v_lshl_add_u64 v[38:39], v[38:39], 1, s[8:9]
	global_load_dword v11, v[38:39], off
	s_waitcnt vmcnt(1)
	;;#ASMSTART
	v_and_or_b32 v38, v4, v36, v37
	;;#ASMEND
	v_add_u32_e32 v34, 64, v34
	v_and_b32_e32 v51, 0xffff0000, v38
	v_lshlrev_b32_e32 v38, 16, v38
	v_add_u32_e32 v10, 0x400, v10
	v_lshrrev_b32_e32 v39, 4, v4
	v_lshrrev_b32_e32 v40, 8, v4
	;; [unrolled: 1-line block ×6, first 2 shown]
	;;#ASMSTART
	v_and_or_b32 v39, v39, v36, v37
	;;#ASMEND
	;;#ASMSTART
	v_and_or_b32 v40, v40, v36, v37
	;;#ASMEND
	;; [unrolled: 3-line block ×5, first 2 shown]
	s_waitcnt vmcnt(0)
	v_and_b32_e32 v4, 0xffff0000, v11
	v_and_b32_e32 v56, 0xffff0000, v42
	v_lshlrev_b32_e32 v42, 16, v42
	v_add_f32_e32 v42, 0xc3080000, v42
	v_cvt_pk_bf16_f32 v42, v42, s0
	v_lshlrev_b32_e32 v11, 16, v11
	;;#ASMSTART
	v_and_or_b32 v43, v43, v36, v37
	;;#ASMEND
	v_add_f32_e32 v56, 0xc3080000, v56
	v_lshlrev_b32_e32 v42, 16, v42
	v_and_b32_e32 v57, 0xffff0000, v43
	v_lshlrev_b32_e32 v43, 16, v43
	v_cvt_pk_bf16_f32 v56, v56, s0
	v_fma_f32 v42, v42, v11, v4
	v_add_f32_e32 v43, 0xc3080000, v43
	v_cvt_pk_bf16_f32 v59, v42, s0
	v_lshlrev_b32_e32 v42, 16, v56
	v_cvt_pk_bf16_f32 v43, v43, s0
	v_fma_f32 v42, v42, v11, v4
	;;#ASMSTART
	v_and_or_b32 v44, v44, v36, v37
	;;#ASMEND
	v_add_f32_e32 v57, 0xc3080000, v57
	v_cvt_pk_bf16_f32 v56, v42, s0
	v_lshlrev_b32_e32 v42, 16, v43
	v_lshrrev_b32_e32 v45, 4, v6
	v_lshrrev_b32_e32 v46, 8, v6
	v_lshrrev_b32_e32 v47, 12, v6
	v_cvt_pk_bf16_f32 v57, v57, s0
	v_and_b32_e32 v58, 0xffff0000, v44
	v_lshlrev_b32_e32 v44, 16, v44
	v_fma_f32 v42, v42, v11, v4
	v_lshrrev_b32_e32 v48, 4, v7
	v_lshrrev_b32_e32 v49, 8, v7
	;; [unrolled: 1-line block ×3, first 2 shown]
	;;#ASMSTART
	v_and_or_b32 v52, v6, v36, v37
	;;#ASMEND
	;;#ASMSTART
	v_and_or_b32 v45, v45, v36, v37
	;;#ASMEND
	;;#ASMSTART
	v_and_or_b32 v46, v46, v36, v37
	;;#ASMEND
	;;#ASMSTART
	v_and_or_b32 v47, v47, v36, v37
	;;#ASMEND
	;;#ASMSTART
	v_and_or_b32 v53, v7, v36, v37
	;;#ASMEND
	v_add_f32_e32 v7, 0xc3080000, v38
	v_and_b32_e32 v38, 0xffff0000, v39
	v_lshlrev_b32_e32 v39, 16, v39
	v_add_f32_e32 v44, 0xc3080000, v44
	v_cvt_pk_bf16_f32 v60, v42, s0
	v_lshlrev_b32_e32 v42, 16, v57
	v_add_f32_e32 v6, 0xc3080000, v51
	v_add_f32_e32 v38, 0xc3080000, v38
	v_add_f32_e32 v39, 0xc3080000, v39
	v_cvt_pk_bf16_f32 v44, v44, s0
	v_fma_f32 v42, v42, v11, v4
	v_cvt_pk_bf16_f32 v6, v6, s0
	v_cvt_pk_bf16_f32 v7, v7, s0
	;; [unrolled: 1-line block ×4, first 2 shown]
	v_add_f32_e32 v58, 0xc3080000, v58
	v_cvt_pk_bf16_f32 v57, v42, s0
	v_lshlrev_b32_e32 v42, 16, v44
	v_lshlrev_b32_e32 v7, 16, v7
	;; [unrolled: 1-line block ×5, first 2 shown]
	v_cvt_pk_bf16_f32 v58, v58, s0
	v_fma_f32 v42, v42, v11, v4
	v_fma_f32 v7, v7, v11, v4
	v_fma_f32 v6, v6, v11, v4
	v_fma_f32 v39, v39, v11, v4
	v_fma_f32 v38, v38, v11, v4
	v_cvt_pk_bf16_f32 v61, v42, s0
	v_lshlrev_b32_e32 v42, 16, v58
	v_cvt_pk_bf16_f32 v7, v7, s0
	v_cvt_pk_bf16_f32 v6, v6, s0
	;; [unrolled: 1-line block ×4, first 2 shown]
	v_fma_f32 v42, v42, v11, v4
	v_and_b32_e32 v54, 0xffff0000, v41
	v_lshlrev_b32_e32 v41, 16, v41
	v_cvt_pk_bf16_f32 v58, v42, s0
	v_perm_b32 v6, v6, v7, s2
	v_perm_b32 v7, v38, v39, s2
	v_and_b32_e32 v38, 0xffff0000, v52
	v_and_b32_e32 v42, 0xffff0000, v45
	v_add_f32_e32 v54, 0xc3080000, v54
	v_add_f32_e32 v41, 0xc3080000, v41
	;; [unrolled: 1-line block ×4, first 2 shown]
	v_and_b32_e32 v51, 0xffff0000, v40
	v_lshlrev_b32_e32 v40, 16, v40
	v_cvt_pk_bf16_f32 v54, v54, s0
	v_cvt_pk_bf16_f32 v41, v41, s0
	;; [unrolled: 1-line block ×4, first 2 shown]
	v_lshlrev_b32_e32 v42, 16, v45
	v_add_f32_e32 v51, 0xc3080000, v51
	v_add_f32_e32 v40, 0xc3080000, v40
	v_lshlrev_b32_e32 v41, 16, v41
	v_lshlrev_b32_e32 v54, 16, v54
	v_add_f32_e32 v42, 0xc3080000, v42
	v_lshlrev_b32_e32 v38, 16, v38
	v_cvt_pk_bf16_f32 v51, v51, s0
	v_cvt_pk_bf16_f32 v40, v40, s0
	v_fma_f32 v41, v41, v11, v4
	v_fma_f32 v54, v54, v11, v4
	v_cvt_pk_bf16_f32 v45, v42, s0
	v_fma_f32 v38, v38, v11, v4
	v_lshlrev_b32_e32 v40, 16, v40
	v_lshlrev_b32_e32 v51, 16, v51
	v_cvt_pk_bf16_f32 v41, v41, s0
	v_cvt_pk_bf16_f32 v54, v54, s0
	v_lshlrev_b32_e32 v39, 16, v52
	v_cvt_pk_bf16_f32 v52, v38, s0
	v_lshlrev_b32_e32 v38, 16, v45
	v_fma_f32 v40, v40, v11, v4
	v_fma_f32 v51, v51, v11, v4
	v_perm_b32 v43, v54, v41, s2
	v_lshlrev_b32_e32 v41, 16, v46
	v_fma_f32 v38, v38, v11, v4
	v_cvt_pk_bf16_f32 v40, v40, s0
	v_cvt_pk_bf16_f32 v51, v51, s0
	v_add_f32_e32 v41, 0xc3080000, v41
	v_cvt_pk_bf16_f32 v54, v38, s0
	v_lshlrev_b32_e32 v38, 16, v44
	v_perm_b32 v42, v51, v40, s2
	v_and_b32_e32 v40, 0xffff0000, v46
	v_cvt_pk_bf16_f32 v41, v41, s0
	v_fma_f32 v38, v38, v11, v4
	v_add_f32_e32 v40, 0xc3080000, v40
	v_cvt_pk_bf16_f32 v62, v38, s0
	v_lshlrev_b32_e32 v38, 16, v41
	v_cvt_pk_bf16_f32 v40, v40, s0
	v_and_b32_e32 v46, 0xffff0000, v47
	v_lshlrev_b32_e32 v47, 16, v47
	v_fma_f32 v38, v38, v11, v4
	v_add_f32_e32 v47, 0xc3080000, v47
	v_cvt_pk_bf16_f32 v63, v38, s0
	v_lshlrev_b32_e32 v38, 16, v40
	v_cvt_pk_bf16_f32 v47, v47, s0
	v_fma_f32 v38, v38, v11, v4
	v_add_f32_e32 v39, 0xc3080000, v39
	v_add_f32_e32 v46, 0xc3080000, v46
	v_cvt_pk_bf16_f32 v64, v38, s0
	v_lshlrev_b32_e32 v38, 16, v47
	v_cvt_pk_bf16_f32 v39, v39, s0
	v_cvt_pk_bf16_f32 v46, v46, s0
	v_fma_f32 v38, v38, v11, v4
	v_lshlrev_b32_e32 v39, 16, v39
	v_cvt_pk_bf16_f32 v65, v38, s0
	v_lshlrev_b32_e32 v38, 16, v46
	v_and_b32_e32 v55, 0xffff0000, v5
	v_lshlrev_b32_e32 v5, 16, v5
	v_fma_f32 v39, v39, v11, v4
	v_fma_f32 v38, v38, v11, v4
	v_add_f32_e32 v55, 0xc3080000, v55
	v_add_f32_e32 v5, 0xc3080000, v5
	v_cvt_pk_bf16_f32 v51, v39, s0
	v_cvt_pk_bf16_f32 v66, v38, s0
	;;#ASMSTART
	v_and_or_b32 v38, v48, v36, v37
	;;#ASMEND
	;;#ASMSTART
	v_and_or_b32 v39, v49, v36, v37
	;;#ASMEND
	v_cvt_pk_bf16_f32 v55, v55, s0
	v_cvt_pk_bf16_f32 v5, v5, s0
	v_and_b32_e32 v49, 0xffff0000, v39
	v_lshlrev_b32_e32 v39, 16, v39
	v_lshlrev_b32_e32 v5, 16, v5
	;; [unrolled: 1-line block ×3, first 2 shown]
	v_add_f32_e32 v39, 0xc3080000, v39
	v_fma_f32 v5, v5, v11, v4
	v_fma_f32 v55, v55, v11, v4
	;;#ASMSTART
	v_and_or_b32 v40, v50, v36, v37
	;;#ASMEND
	v_and_b32_e32 v46, 0xffff0000, v38
	v_lshlrev_b32_e32 v38, 16, v38
	v_cvt_pk_bf16_f32 v50, v39, s0
	v_and_b32_e32 v39, 0xffff0000, v40
	v_cvt_pk_bf16_f32 v5, v5, s0
	v_cvt_pk_bf16_f32 v55, v55, s0
	v_lshlrev_b32_e32 v41, 16, v53
	v_add_f32_e32 v38, 0xc3080000, v38
	v_add_f32_e32 v39, 0xc3080000, v39
	v_perm_b32 v44, v55, v5, s2
	v_add_f32_e32 v41, 0xc3080000, v41
	v_cvt_pk_bf16_f32 v38, v38, s0
	v_cvt_pk_bf16_f32 v55, v39, s0
	v_lshlrev_b32_e32 v39, 16, v40
	v_cvt_pk_bf16_f32 v41, v41, s0
	v_add_f32_e32 v46, 0xc3080000, v46
	v_add_f32_e32 v39, 0xc3080000, v39
	v_lshlrev_b32_e32 v38, 16, v38
	v_and_b32_e32 v5, 0xffff0000, v53
	v_cvt_pk_bf16_f32 v48, v46, s0
	v_cvt_pk_bf16_f32 v53, v39, s0
	v_lshlrev_b32_e32 v39, 16, v41
	v_fma_f32 v38, v38, v11, v4
	v_perm_b32 v46, v57, v60, s2
	v_fma_f32 v39, v39, v11, v4
	v_cvt_pk_bf16_f32 v57, v38, s0
	v_lshlrev_b32_e32 v38, 16, v48
	v_perm_b32 v45, v56, v59, s2
	v_add_f32_e32 v49, 0xc3080000, v49
	v_cvt_pk_bf16_f32 v56, v39, s0
	v_fma_f32 v48, v38, v11, v4
	v_mfma_f32_16x16x16_bf16 v[38:41], v[16:17], v[6:7], 0
	v_lshlrev_b32_e32 v6, 16, v50
	v_cvt_pk_bf16_f32 v49, v49, s0
	v_fma_f32 v6, v6, v11, v4
	v_cvt_pk_bf16_f32 v59, v6, s0
	v_lshlrev_b32_e32 v6, 16, v49
	v_add_f32_e32 v5, 0xc3080000, v5
	v_fma_f32 v6, v6, v11, v4
	v_cvt_pk_bf16_f32 v5, v5, s0
	v_mfma_f32_16x16x16_bf16 v[14:17], v[14:15], v[42:43], 0
	v_perm_b32 v47, v58, v61, s2
	v_lshlrev_b32_e32 v5, 16, v5
	v_fma_f32 v5, v5, v11, v4
	v_mfma_f32_16x16x16_bf16 v[42:45], v[12:13], v[44:45], 0
	v_cvt_pk_bf16_f32 v12, v6, s0
	v_lshlrev_b32_e32 v6, 16, v53
	v_fma_f32 v6, v6, v11, v4
	v_cvt_pk_bf16_f32 v58, v48, s0
	v_mfma_f32_16x16x16_bf16 v[46:49], v[18:19], v[46:47], 0
	v_cvt_pk_bf16_f32 v13, v6, s0
	v_perm_b32 v6, v52, v51, s2
	v_perm_b32 v7, v62, v54, s2
	v_lshlrev_b32_e32 v18, 16, v55
	v_cvt_pk_bf16_f32 v5, v5, s0
	v_mfma_f32_16x16x16_bf16 v[50:53], v[24:25], v[6:7], 0
	v_perm_b32 v6, v64, v63, s2
	v_perm_b32 v7, v66, v65, s2
	v_fmac_f32_e32 v4, v18, v11
	v_pk_add_f32 v[2:3], v[2:3], v[40:41]
	v_pk_add_f32 v[0:1], v[0:1], v[38:39]
	v_mfma_f32_16x16x16_bf16 v[22:25], v[22:23], v[6:7], 0
	v_perm_b32 v6, v5, v56, s2
	v_perm_b32 v7, v58, v57, s2
	v_cvt_pk_bf16_f32 v5, v4, s0
	v_pk_add_f32 v[2:3], v[2:3], v[16:17]
	v_pk_add_f32 v[0:1], v[0:1], v[14:15]
	v_mfma_f32_16x16x16_bf16 v[18:21], v[20:21], v[6:7], 0
	v_perm_b32 v4, v12, v59, s2
	v_perm_b32 v5, v5, v13, s2
	v_pk_add_f32 v[2:3], v[2:3], v[44:45]
	v_pk_add_f32 v[0:1], v[0:1], v[42:43]
	v_mfma_f32_16x16x16_bf16 v[4:7], v[26:27], v[4:5], 0
	v_add_f32_e64 v2, v2, v48
	v_add_f32_e64 v3, v3, v49
	v_pk_add_f32 v[0:1], v[0:1], v[46:47]
	v_pk_add_f32 v[2:3], v[2:3], v[52:53]
	;; [unrolled: 1-line block ×7, first 2 shown]
	v_cmp_le_i32_e64 s[0:1], s15, v34
	v_pk_add_f32 v[2:3], v[2:3], v[6:7]
	v_pk_add_f32 v[0:1], v[0:1], v[4:5]
	s_or_b64 s[22:23], s[0:1], s[22:23]
	s_andn2_b64 exec, exec, s[22:23]
	s_cbranch_execz .LBB8_11
.LBB8_3:                                ; =>This Inner Loop Header: Depth=1
	v_ashrrev_i32_e32 v11, 31, v10
	v_lshl_add_u64 v[4:5], v[10:11], 1, v[8:9]
	v_mov_b32_e32 v12, 0
	v_mov_b32_e32 v16, 0
	;; [unrolled: 1-line block ×5, first 2 shown]
	s_and_saveexec_b64 s[0:1], vcc
	s_cbranch_execz .LBB8_5
; %bb.4:                                ;   in Loop: Header=BB8_3 Depth=1
	global_load_dwordx2 v[16:17], v[4:5], off
	global_load_dwordx2 v[14:15], v[4:5], off offset:32
.LBB8_5:                                ;   in Loop: Header=BB8_3 Depth=1
	s_or_b64 exec, exec, s[0:1]
	v_mov_b32_e32 v13, 0
	v_mov_b32_e32 v18, 0
	;; [unrolled: 1-line block ×3, first 2 shown]
	s_and_saveexec_b64 s[0:1], vcc
	s_cbranch_execz .LBB8_7
; %bb.6:                                ;   in Loop: Header=BB8_3 Depth=1
	global_load_dwordx2 v[12:13], v[4:5], off offset:64
	global_load_dwordx2 v[18:19], v[4:5], off offset:96
.LBB8_7:                                ;   in Loop: Header=BB8_3 Depth=1
	s_or_b64 exec, exec, s[0:1]
	v_mov_b32_e32 v20, 0
	v_mov_b32_e32 v24, 0
	;; [unrolled: 1-line block ×5, first 2 shown]
	s_and_saveexec_b64 s[0:1], vcc
	s_cbranch_execz .LBB8_9
; %bb.8:                                ;   in Loop: Header=BB8_3 Depth=1
	global_load_dwordx2 v[24:25], v[4:5], off offset:128
	global_load_dwordx2 v[22:23], v[4:5], off offset:160
.LBB8_9:                                ;   in Loop: Header=BB8_3 Depth=1
	s_or_b64 exec, exec, s[0:1]
	v_mov_b32_e32 v21, 0
	v_mov_b32_e32 v26, 0
	;; [unrolled: 1-line block ×3, first 2 shown]
	s_and_saveexec_b64 s[0:1], vcc
	s_cbranch_execz .LBB8_2
; %bb.10:                               ;   in Loop: Header=BB8_3 Depth=1
	global_load_dwordx2 v[20:21], v[4:5], off offset:192
	global_load_dwordx2 v[26:27], v[4:5], off offset:224
	s_branch .LBB8_2
.LBB8_11:
	s_or_b64 exec, exec, s[22:23]
.LBB8_12:
	s_or_b64 exec, exec, s[20:21]
	v_add_u32_e32 v22, s15, v33
	v_cmp_gt_u32_e32 vcc, s7, v22
	s_and_saveexec_b64 s[0:1], vcc
	s_cbranch_execz .LBB8_22
; %bb.13:
	v_lshl_or_b32 v8, s4, 4, v31
	v_and_b32_e32 v4, 0xfc, v29
	v_mul_lo_u32 v6, s14, v8
	v_lshl_add_u32 v4, v22, 4, v4
	v_ashrrev_i32_e32 v7, 31, v6
	v_lshl_add_u64 v[6:7], v[6:7], 1, s[16:17]
	v_ashrrev_i32_e32 v5, 31, v4
	v_lshl_add_u64 v[20:21], v[4:5], 1, v[6:7]
	v_cmp_gt_i32_e32 vcc, s12, v8
	v_mov_b32_e32 v4, 0
	v_mov_b32_e32 v8, 0
	;; [unrolled: 1-line block ×5, first 2 shown]
	s_and_saveexec_b64 s[14:15], vcc
	s_cbranch_execz .LBB8_15
; %bb.14:
	global_load_dwordx2 v[8:9], v[20:21], off
	global_load_dwordx2 v[6:7], v[20:21], off offset:32
.LBB8_15:
	s_or_b64 exec, exec, s[14:15]
	v_mov_b32_e32 v5, 0
	v_mov_b32_e32 v10, 0
	v_mov_b32_e32 v11, 0
	s_and_saveexec_b64 s[14:15], vcc
	s_cbranch_execz .LBB8_17
; %bb.16:
	global_load_dwordx2 v[4:5], v[20:21], off offset:64
	global_load_dwordx2 v[10:11], v[20:21], off offset:96
.LBB8_17:
	s_or_b64 exec, exec, s[14:15]
	v_mov_b32_e32 v12, 0
	v_mov_b32_e32 v16, 0
	;; [unrolled: 1-line block ×5, first 2 shown]
	s_and_saveexec_b64 s[14:15], vcc
	s_cbranch_execz .LBB8_19
; %bb.18:
	global_load_dwordx2 v[16:17], v[20:21], off offset:128
	global_load_dwordx2 v[14:15], v[20:21], off offset:160
.LBB8_19:
	s_or_b64 exec, exec, s[14:15]
	v_mov_b32_e32 v13, 0
	v_mov_b32_e32 v18, 0
	;; [unrolled: 1-line block ×3, first 2 shown]
	s_and_saveexec_b64 s[14:15], vcc
	s_cbranch_execz .LBB8_21
; %bb.20:
	global_load_dwordx2 v[12:13], v[20:21], off offset:192
	global_load_dwordx2 v[18:19], v[20:21], off offset:224
.LBB8_21:
	s_or_b64 exec, exec, s[14:15]
	v_ashrrev_i32_e32 v24, 3, v22
	v_add_u32_e32 v20, s5, v24
	v_lshl_add_u32 v20, v20, 8, v32
	v_ashrrev_i32_e32 v21, 31, v20
	v_lshl_add_u64 v[20:21], v[20:21], 2, s[18:19]
	global_load_dwordx4 v[20:23], v[20:21], off
	v_mul_lo_u32 v24, s6, v24
	v_lshl_or_b32 v25, s3, 4, v31
	v_lshlrev_b32_e32 v24, 4, v24
	v_add_lshl_u32 v24, v25, v24, 1
	v_ashrrev_i32_e32 v25, 31, v24
	v_lshl_add_u64 v[24:25], v[24:25], 1, s[8:9]
	global_load_dword v24, v[24:25], off
	v_mov_b32_e32 v25, 0xf000f
	v_mov_b32_e32 v26, 0x43004300
	s_waitcnt vmcnt(1)
	;;#ASMSTART
	v_and_or_b32 v27, v20, v25, v26
	;;#ASMEND
	s_mov_b32 s2, 0x5040100
	v_and_b32_e32 v36, 0xffff0000, v27
	v_lshlrev_b32_e32 v27, 16, v27
	v_add_f32_e32 v27, 0xc3080000, v27
	v_cvt_pk_bf16_f32 v27, v27, s0
	v_lshlrev_b32_e32 v27, 16, v27
	v_lshrrev_b32_e32 v31, 4, v20
	v_lshrrev_b32_e32 v32, 8, v20
	;; [unrolled: 1-line block ×3, first 2 shown]
	;;#ASMSTART
	v_and_or_b32 v31, v31, v25, v26
	;;#ASMEND
	;;#ASMSTART
	v_and_or_b32 v32, v32, v25, v26
	;;#ASMEND
	;;#ASMSTART
	v_and_or_b32 v20, v20, v25, v26
	;;#ASMEND
	v_lshrrev_b32_e32 v33, 4, v21
	v_and_b32_e32 v38, 0xffff0000, v20
	v_lshlrev_b32_e32 v20, 16, v20
	v_lshrrev_b32_e32 v34, 8, v21
	v_lshrrev_b32_e32 v35, 12, v21
	;;#ASMSTART
	v_and_or_b32 v21, v21, v25, v26
	;;#ASMEND
	v_add_f32_e32 v20, 0xc3080000, v20
	v_and_b32_e32 v39, 0xffff0000, v21
	v_lshlrev_b32_e32 v21, 16, v21
	v_cvt_pk_bf16_f32 v20, v20, s0
	s_waitcnt vmcnt(0)
	v_and_b32_e32 v40, 0xffff0000, v24
	v_lshlrev_b32_e32 v41, 16, v24
	;;#ASMSTART
	v_and_or_b32 v24, v33, v25, v26
	;;#ASMEND
	;;#ASMSTART
	v_and_or_b32 v33, v34, v25, v26
	;;#ASMEND
	v_add_f32_e32 v21, 0xc3080000, v21
	v_and_b32_e32 v43, 0xffff0000, v33
	v_lshlrev_b32_e32 v20, 16, v20
	;;#ASMSTART
	v_and_or_b32 v34, v35, v25, v26
	;;#ASMEND
	v_add_f32_e32 v43, 0xc3080000, v43
	v_cvt_pk_bf16_f32 v21, v21, s0
	v_fma_f32 v20, v20, v41, v40
	v_add_f32_e32 v39, 0xc3080000, v39
	v_cvt_pk_bf16_f32 v44, v20, s0
	v_cvt_pk_bf16_f32 v20, v43, s0
	v_and_b32_e32 v43, 0xffff0000, v34
	v_lshlrev_b32_e32 v34, 16, v34
	v_lshlrev_b32_e32 v21, 16, v21
	v_and_b32_e32 v42, 0xffff0000, v24
	v_lshlrev_b32_e32 v24, 16, v24
	v_cvt_pk_bf16_f32 v39, v39, s0
	v_add_f32_e32 v34, 0xc3080000, v34
	v_fma_f32 v21, v21, v41, v40
	v_lshlrev_b32_e32 v20, 16, v20
	v_add_f32_e32 v24, 0xc3080000, v24
	v_cvt_pk_bf16_f32 v34, v34, s0
	v_cvt_pk_bf16_f32 v45, v21, s0
	v_lshlrev_b32_e32 v21, 16, v39
	v_fma_f32 v20, v20, v41, v40
	v_cvt_pk_bf16_f32 v24, v24, s0
	v_add_f32_e32 v43, 0xc3080000, v43
	v_fma_f32 v21, v21, v41, v40
	v_cvt_pk_bf16_f32 v47, v20, s0
	v_lshlrev_b32_e32 v20, 16, v34
	v_add_f32_e32 v42, 0xc3080000, v42
	v_cvt_pk_bf16_f32 v43, v43, s0
	v_cvt_pk_bf16_f32 v39, v21, s0
	v_lshlrev_b32_e32 v21, 16, v24
	v_fma_f32 v20, v20, v41, v40
	v_cvt_pk_bf16_f32 v42, v42, s0
	v_lshlrev_b32_e32 v33, 16, v33
	v_fma_f32 v21, v21, v41, v40
	v_cvt_pk_bf16_f32 v34, v20, s0
	v_lshlrev_b32_e32 v20, 16, v43
	v_add_f32_e32 v33, 0xc3080000, v33
	v_cvt_pk_bf16_f32 v46, v21, s0
	v_lshlrev_b32_e32 v21, 16, v42
	v_fma_f32 v20, v20, v41, v40
	v_cvt_pk_bf16_f32 v33, v33, s0
	v_fma_f32 v21, v21, v41, v40
	v_cvt_pk_bf16_f32 v43, v20, s0
	;;#ASMSTART
	v_and_or_b32 v20, v22, v25, v26
	;;#ASMEND
	v_cvt_pk_bf16_f32 v42, v21, s0
	v_lshlrev_b32_e32 v21, 16, v33
	v_and_b32_e32 v48, 0xffff0000, v20
	v_lshlrev_b32_e32 v20, 16, v20
	v_fma_f32 v21, v21, v41, v40
	v_add_f32_e32 v20, 0xc3080000, v20
	v_cvt_pk_bf16_f32 v33, v21, s0
	v_lshrrev_b32_e32 v21, 4, v22
	v_cvt_pk_bf16_f32 v20, v20, s0
	;;#ASMSTART
	v_and_or_b32 v21, v21, v25, v26
	;;#ASMEND
	v_add_f32_e32 v48, 0xc3080000, v48
	v_lshlrev_b32_e32 v20, 16, v20
	v_cvt_pk_bf16_f32 v48, v48, s0
	v_and_b32_e32 v49, 0xffff0000, v21
	v_lshlrev_b32_e32 v21, 16, v21
	v_fma_f32 v20, v20, v41, v40
	v_add_f32_e32 v21, 0xc3080000, v21
	v_cvt_pk_bf16_f32 v52, v20, s0
	v_lshlrev_b32_e32 v20, 16, v48
	v_lshrrev_b32_e32 v24, 8, v22
	v_cvt_pk_bf16_f32 v21, v21, s0
	v_fma_f32 v20, v20, v41, v40
	;;#ASMSTART
	v_and_or_b32 v24, v24, v25, v26
	;;#ASMEND
	v_add_f32_e32 v49, 0xc3080000, v49
	v_cvt_pk_bf16_f32 v48, v20, s0
	v_lshlrev_b32_e32 v20, 16, v21
	v_cvt_pk_bf16_f32 v49, v49, s0
	v_and_b32_e32 v50, 0xffff0000, v24
	v_lshlrev_b32_e32 v24, 16, v24
	v_fma_f32 v20, v20, v41, v40
	v_add_f32_e32 v24, 0xc3080000, v24
	v_cvt_pk_bf16_f32 v53, v20, s0
	v_lshlrev_b32_e32 v20, 16, v49
	v_lshrrev_b32_e32 v22, 12, v22
	v_cvt_pk_bf16_f32 v24, v24, s0
	v_fma_f32 v20, v20, v41, v40
	;;#ASMSTART
	v_and_or_b32 v22, v22, v25, v26
	;;#ASMEND
	v_add_f32_e32 v50, 0xc3080000, v50
	v_cvt_pk_bf16_f32 v49, v20, s0
	v_lshlrev_b32_e32 v20, 16, v24
	v_cvt_pk_bf16_f32 v50, v50, s0
	v_and_b32_e32 v51, 0xffff0000, v22
	v_lshlrev_b32_e32 v22, 16, v22
	v_fma_f32 v20, v20, v41, v40
	v_add_f32_e32 v22, 0xc3080000, v22
	v_cvt_pk_bf16_f32 v54, v20, s0
	v_lshlrev_b32_e32 v20, 16, v50
	v_cvt_pk_bf16_f32 v22, v22, s0
	v_fma_f32 v20, v20, v41, v40
	v_add_f32_e32 v51, 0xc3080000, v51
	v_cvt_pk_bf16_f32 v50, v20, s0
	v_lshlrev_b32_e32 v20, 16, v22
	v_cvt_pk_bf16_f32 v51, v51, s0
	v_fma_f32 v20, v20, v41, v40
	v_cvt_pk_bf16_f32 v55, v20, s0
	v_lshlrev_b32_e32 v20, 16, v51
	v_fma_f32 v20, v20, v41, v40
	v_cvt_pk_bf16_f32 v51, v20, s0
	;;#ASMSTART
	v_and_or_b32 v20, v23, v25, v26
	;;#ASMEND
	v_lshrrev_b32_e32 v21, 4, v23
	v_and_b32_e32 v24, 0xffff0000, v20
	v_lshlrev_b32_e32 v20, 16, v20
	v_add_f32_e32 v20, 0xc3080000, v20
	v_cvt_pk_bf16_f32 v20, v20, s0
	;;#ASMSTART
	v_and_or_b32 v21, v21, v25, v26
	;;#ASMEND
	v_lshrrev_b32_e32 v22, 8, v23
	v_lshrrev_b32_e32 v23, 12, v23
	v_add_f32_e32 v24, 0xc3080000, v24
	v_lshlrev_b32_e32 v20, 16, v20
	;;#ASMSTART
	v_and_or_b32 v22, v22, v25, v26
	;;#ASMEND
	;;#ASMSTART
	v_and_or_b32 v23, v23, v25, v26
	;;#ASMEND
	v_cvt_pk_bf16_f32 v24, v24, s0
	v_and_b32_e32 v25, 0xffff0000, v21
	v_lshlrev_b32_e32 v21, 16, v21
	v_fma_f32 v20, v20, v41, v40
	v_add_f32_e32 v21, 0xc3080000, v21
	v_cvt_pk_bf16_f32 v58, v20, s0
	v_lshlrev_b32_e32 v20, 16, v24
	v_cvt_pk_bf16_f32 v21, v21, s0
	v_fma_f32 v20, v20, v41, v40
	v_add_f32_e32 v25, 0xc3080000, v25
	v_cvt_pk_bf16_f32 v59, v20, s0
	v_lshlrev_b32_e32 v20, 16, v21
	v_add_f32_e32 v35, 0xc3080000, v36
	v_and_b32_e32 v36, 0xffff0000, v31
	v_lshlrev_b32_e32 v31, 16, v31
	v_cvt_pk_bf16_f32 v25, v25, s0
	v_and_b32_e32 v26, 0xffff0000, v22
	v_lshlrev_b32_e32 v22, 16, v22
	v_fma_f32 v20, v20, v41, v40
	v_and_b32_e32 v37, 0xffff0000, v32
	v_lshlrev_b32_e32 v32, 16, v32
	v_add_f32_e32 v36, 0xc3080000, v36
	v_add_f32_e32 v31, 0xc3080000, v31
	;; [unrolled: 1-line block ×3, first 2 shown]
	v_cvt_pk_bf16_f32 v60, v20, s0
	v_lshlrev_b32_e32 v20, 16, v25
	v_cvt_pk_bf16_f32 v35, v35, s0
	v_add_f32_e32 v37, 0xc3080000, v37
	v_add_f32_e32 v32, 0xc3080000, v32
	;; [unrolled: 1-line block ×3, first 2 shown]
	v_cvt_pk_bf16_f32 v36, v36, s0
	v_cvt_pk_bf16_f32 v31, v31, s0
	;; [unrolled: 1-line block ×3, first 2 shown]
	v_fma_f32 v20, v20, v41, v40
	v_cvt_pk_bf16_f32 v37, v37, s0
	v_cvt_pk_bf16_f32 v32, v32, s0
	;; [unrolled: 1-line block ×3, first 2 shown]
	v_lshlrev_b32_e32 v35, 16, v35
	v_lshlrev_b32_e32 v31, 16, v31
	;; [unrolled: 1-line block ×3, first 2 shown]
	v_add_f32_e32 v26, 0xc3080000, v26
	v_cvt_pk_bf16_f32 v61, v20, s0
	v_lshlrev_b32_e32 v20, 16, v22
	v_fma_f32 v27, v27, v41, v40
	v_fma_f32 v35, v35, v41, v40
	v_lshlrev_b32_e32 v32, 16, v32
	v_lshlrev_b32_e32 v37, 16, v37
	v_lshlrev_b32_e32 v38, 16, v38
	v_fma_f32 v31, v31, v41, v40
	v_fma_f32 v36, v36, v41, v40
	v_cvt_pk_bf16_f32 v26, v26, s0
	v_fma_f32 v20, v20, v41, v40
	v_cvt_pk_bf16_f32 v27, v27, s0
	v_cvt_pk_bf16_f32 v35, v35, s0
	v_fma_f32 v32, v32, v41, v40
	v_fma_f32 v37, v37, v41, v40
	;; [unrolled: 1-line block ×3, first 2 shown]
	v_cvt_pk_bf16_f32 v31, v31, s0
	v_cvt_pk_bf16_f32 v36, v36, s0
	v_and_b32_e32 v56, 0xffff0000, v23
	v_lshlrev_b32_e32 v23, 16, v23
	v_cvt_pk_bf16_f32 v62, v20, s0
	v_lshlrev_b32_e32 v20, 16, v26
	v_cvt_pk_bf16_f32 v32, v32, s0
	v_cvt_pk_bf16_f32 v37, v37, s0
	;; [unrolled: 1-line block ×3, first 2 shown]
	v_add_f32_e32 v23, 0xc3080000, v23
	v_fma_f32 v24, v20, v41, v40
	v_perm_b32 v20, v35, v27, s2
	v_perm_b32 v21, v36, v31, s2
	v_cvt_pk_bf16_f32 v57, v23, s0
	v_cvt_pk_bf16_f32 v31, v24, s0
	v_mfma_f32_16x16x16_bf16 v[20:23], v[8:9], v[20:21], 0
	v_perm_b32 v8, v37, v32, s2
	v_perm_b32 v9, v38, v44, s2
	;; [unrolled: 1-line block ×4, first 2 shown]
	v_add_f32_e32 v56, 0xc3080000, v56
	v_mfma_f32_16x16x16_bf16 v[6:9], v[6:7], v[8:9], 0
	v_lshlrev_b32_e32 v32, 16, v57
	v_cvt_pk_bf16_f32 v56, v56, s0
	v_fma_f32 v36, v32, v41, v40
	v_mfma_f32_16x16x16_bf16 v[24:27], v[4:5], v[24:25], 0
	v_perm_b32 v4, v47, v33, s2
	v_perm_b32 v5, v43, v34, s2
	v_cvt_pk_bf16_f32 v42, v36, s0
	v_pk_add_f32 v[2:3], v[2:3], v[22:23]
	v_mfma_f32_16x16x16_bf16 v[32:35], v[10:11], v[4:5], 0
	v_perm_b32 v4, v48, v52, s2
	v_perm_b32 v5, v49, v53, s2
	v_lshlrev_b32_e32 v10, 16, v56
	v_fmac_f32_e32 v40, v10, v41
	v_mfma_f32_16x16x16_bf16 v[36:39], v[16:17], v[4:5], 0
	v_perm_b32 v4, v50, v54, s2
	v_perm_b32 v5, v51, v55, s2
	v_pk_add_f32 v[0:1], v[0:1], v[20:21]
	v_pk_add_f32 v[2:3], v[2:3], v[8:9]
	v_mfma_f32_16x16x16_bf16 v[14:17], v[14:15], v[4:5], 0
	v_perm_b32 v4, v59, v58, s2
	v_perm_b32 v5, v61, v60, s2
	v_pk_add_f32 v[0:1], v[0:1], v[6:7]
	v_pk_add_f32 v[2:3], v[2:3], v[26:27]
	v_mfma_f32_16x16x16_bf16 v[10:13], v[12:13], v[4:5], 0
	v_cvt_pk_bf16_f32 v5, v40, s0
	v_perm_b32 v4, v31, v62, s2
	v_perm_b32 v5, v5, v42, s2
	v_pk_add_f32 v[0:1], v[0:1], v[24:25]
	v_pk_add_f32 v[2:3], v[2:3], v[34:35]
	v_mfma_f32_16x16x16_bf16 v[40:43], v[18:19], v[4:5], 0
	v_add_f32_e64 v0, v0, v32
	v_add_f32_e64 v1, v1, v33
	v_pk_add_f32 v[2:3], v[2:3], v[38:39]
	v_pk_add_f32 v[0:1], v[0:1], v[36:37]
	;; [unrolled: 1-line block ×8, first 2 shown]
.LBB8_22:
	s_or_b64 exec, exec, s[0:1]
	v_lshlrev_b32_e32 v27, 4, v28
	v_lshl_add_u32 v4, v30, 10, v27
	v_cmp_eq_u32_e32 vcc, 0, v30
	ds_write_b128 v4, v[0:3]
	s_waitcnt lgkmcnt(0)
	s_barrier
	s_and_saveexec_b64 s[0:1], vcc
	s_cbranch_execz .LBB8_31
; %bb.23:
	v_add_u32_e32 v6, 12, v27
	v_add_u32_e32 v4, 0x404, v27
	;; [unrolled: 1-line block ×7, first 2 shown]
	ds_read2st64_b32 v[0:1], v6 offset1:4
	ds_read2st64_b32 v[2:3], v6 offset0:8 offset1:12
	ds_read2_b32 v[10:11], v27 offset0:1 offset1:2
	ds_read2_b32 v[12:13], v4 offset1:1
	ds_read2_b32 v[14:15], v5 offset1:1
	;; [unrolled: 1-line block ×3, first 2 shown]
	ds_read2st64_b32 v[4:5], v6 offset0:16 offset1:20
	v_add_u32_e32 v9, 0x1404, v27
	ds_read2st64_b32 v[6:7], v6 offset0:24 offset1:28
	ds_read2_b32 v[18:19], v8 offset1:1
	ds_read2_b32 v[20:21], v9 offset1:1
	;; [unrolled: 1-line block ×4, first 2 shown]
	v_and_b32_e32 v8, 0xfc, v29
	v_lshl_add_u32 v26, s4, 4, v8
	s_lshl_b32 s0, s3, 4
	v_and_or_b32 v8, v28, 15, s0
	v_mul_lo_u32 v28, s13, v26
	v_ashrrev_i32_e32 v29, 31, v28
	v_lshl_add_u64 v[28:29], v[28:29], 1, s[10:11]
	v_ashrrev_i32_e32 v9, 31, v8
	v_lshl_add_u64 v[8:9], v[8:9], 1, v[28:29]
	v_cmp_gt_i32_e32 vcc, s12, v26
	s_and_saveexec_b64 s[0:1], vcc
	s_cbranch_execz .LBB8_25
; %bb.24:
	ds_read2st64_b32 v[28:29], v27 offset1:4
	ds_read2st64_b32 v[30:31], v27 offset0:8 offset1:12
	ds_read2st64_b32 v[32:33], v27 offset0:16 offset1:20
	s_waitcnt lgkmcnt(2)
	v_add_f32_e32 v28, 0, v28
	v_add_f32_e32 v34, v28, v29
	ds_read2st64_b32 v[28:29], v27 offset0:24 offset1:28
	s_waitcnt lgkmcnt(2)
	v_add_f32_e32 v27, v34, v30
	v_add_f32_e32 v27, v27, v31
	s_waitcnt lgkmcnt(1)
	v_add_f32_e32 v27, v27, v32
	v_add_f32_e32 v27, v27, v33
	;; [unrolled: 3-line block ×3, first 2 shown]
	v_cvt_pk_bf16_f32 v27, v27, s0
	global_store_short v[8:9], v27, off
.LBB8_25:
	s_or_b64 exec, exec, s[0:1]
	v_or_b32_e32 v27, 1, v26
	v_cmp_gt_i32_e32 vcc, s12, v27
	s_and_saveexec_b64 s[0:1], vcc
	s_cbranch_execz .LBB8_27
; %bb.26:
	s_waitcnt lgkmcnt(9)
	v_add_f32_e32 v10, 0, v10
	s_waitcnt lgkmcnt(8)
	v_add_f32_e32 v10, v10, v12
	;; [unrolled: 2-line block ×8, first 2 shown]
	s_ashr_i32 s3, s13, 31
	s_mov_b32 s2, s13
	v_cvt_pk_bf16_f32 v10, v10, s0
	v_lshl_add_u64 v[28:29], s[2:3], 1, v[8:9]
	global_store_short v[28:29], v10, off
.LBB8_27:
	s_or_b64 exec, exec, s[0:1]
	s_waitcnt lgkmcnt(9)
	v_or_b32_e32 v10, 2, v26
	v_cmp_gt_i32_e32 vcc, s12, v10
	s_and_saveexec_b64 s[0:1], vcc
	s_cbranch_execz .LBB8_29
; %bb.28:
	v_add_f32_e32 v10, 0, v11
	s_waitcnt lgkmcnt(8)
	v_add_f32_e32 v10, v10, v13
	s_waitcnt lgkmcnt(7)
	;; [unrolled: 2-line block ×6, first 2 shown]
	v_add_f32_e32 v10, v10, v23
	s_lshl_b32 s2, s13, 1
	s_waitcnt lgkmcnt(0)
	v_add_f32_e32 v10, v10, v25
	s_ashr_i32 s3, s2, 31
	v_cvt_pk_bf16_f32 v12, v10, s0
	v_lshl_add_u64 v[10:11], s[2:3], 1, v[8:9]
	global_store_short v[10:11], v12, off
.LBB8_29:
	s_or_b64 exec, exec, s[0:1]
	v_or_b32_e32 v10, 3, v26
	v_cmp_gt_i32_e32 vcc, s12, v10
	s_and_b64 exec, exec, vcc
	s_cbranch_execz .LBB8_31
; %bb.30:
	v_add_f32_e32 v0, 0, v0
	v_add_f32_e32 v0, v0, v1
	;; [unrolled: 1-line block ×4, first 2 shown]
	s_waitcnt lgkmcnt(5)
	v_add_f32_e32 v0, v0, v4
	v_add_f32_e32 v0, v0, v5
	s_waitcnt lgkmcnt(4)
	v_add_f32_e32 v0, v0, v6
	v_add_f32_e32 v0, v0, v7
	v_cvt_pk_bf16_f32 v2, v0, s0
	s_mul_i32 s0, s13, 3
	s_ashr_i32 s1, s0, 31
	v_lshl_add_u64 v[0:1], s[0:1], 1, v[8:9]
	global_store_short v[0:1], v2, off
.LBB8_31:
	s_endpgm
	.section	.rodata,"a",@progbits
	.p2align	6, 0x0
	.amdhsa_kernel _ZN2at6native30tinygemm_m16n8k16_chunk_kernelINS0_10ALayout_RMILNS0_14KReductionTypeE0EEENS0_15BLayout_TC_int4ILi8ELi128EEES4_Li8ELi8EEEvPKvS8_S8_Pviiiiii
		.amdhsa_group_segment_fixed_size 8192
		.amdhsa_private_segment_fixed_size 0
		.amdhsa_kernarg_size 56
		.amdhsa_user_sgpr_count 2
		.amdhsa_user_sgpr_dispatch_ptr 0
		.amdhsa_user_sgpr_queue_ptr 0
		.amdhsa_user_sgpr_kernarg_segment_ptr 1
		.amdhsa_user_sgpr_dispatch_id 0
		.amdhsa_user_sgpr_kernarg_preload_length 0
		.amdhsa_user_sgpr_kernarg_preload_offset 0
		.amdhsa_user_sgpr_private_segment_size 0
		.amdhsa_uses_dynamic_stack 0
		.amdhsa_enable_private_segment 0
		.amdhsa_system_sgpr_workgroup_id_x 1
		.amdhsa_system_sgpr_workgroup_id_y 1
		.amdhsa_system_sgpr_workgroup_id_z 1
		.amdhsa_system_sgpr_workgroup_info 0
		.amdhsa_system_vgpr_workitem_id 1
		.amdhsa_next_free_vgpr 67
		.amdhsa_next_free_sgpr 25
		.amdhsa_accum_offset 68
		.amdhsa_reserve_vcc 1
		.amdhsa_float_round_mode_32 0
		.amdhsa_float_round_mode_16_64 0
		.amdhsa_float_denorm_mode_32 3
		.amdhsa_float_denorm_mode_16_64 3
		.amdhsa_dx10_clamp 1
		.amdhsa_ieee_mode 1
		.amdhsa_fp16_overflow 0
		.amdhsa_tg_split 0
		.amdhsa_exception_fp_ieee_invalid_op 0
		.amdhsa_exception_fp_denorm_src 0
		.amdhsa_exception_fp_ieee_div_zero 0
		.amdhsa_exception_fp_ieee_overflow 0
		.amdhsa_exception_fp_ieee_underflow 0
		.amdhsa_exception_fp_ieee_inexact 0
		.amdhsa_exception_int_div_zero 0
	.end_amdhsa_kernel
	.section	.text._ZN2at6native30tinygemm_m16n8k16_chunk_kernelINS0_10ALayout_RMILNS0_14KReductionTypeE0EEENS0_15BLayout_TC_int4ILi8ELi128EEES4_Li8ELi8EEEvPKvS8_S8_Pviiiiii,"axG",@progbits,_ZN2at6native30tinygemm_m16n8k16_chunk_kernelINS0_10ALayout_RMILNS0_14KReductionTypeE0EEENS0_15BLayout_TC_int4ILi8ELi128EEES4_Li8ELi8EEEvPKvS8_S8_Pviiiiii,comdat
.Lfunc_end8:
	.size	_ZN2at6native30tinygemm_m16n8k16_chunk_kernelINS0_10ALayout_RMILNS0_14KReductionTypeE0EEENS0_15BLayout_TC_int4ILi8ELi128EEES4_Li8ELi8EEEvPKvS8_S8_Pviiiiii, .Lfunc_end8-_ZN2at6native30tinygemm_m16n8k16_chunk_kernelINS0_10ALayout_RMILNS0_14KReductionTypeE0EEENS0_15BLayout_TC_int4ILi8ELi128EEES4_Li8ELi8EEEvPKvS8_S8_Pviiiiii
                                        ; -- End function
	.set _ZN2at6native30tinygemm_m16n8k16_chunk_kernelINS0_10ALayout_RMILNS0_14KReductionTypeE0EEENS0_15BLayout_TC_int4ILi8ELi128EEES4_Li8ELi8EEEvPKvS8_S8_Pviiiiii.num_vgpr, 67
	.set _ZN2at6native30tinygemm_m16n8k16_chunk_kernelINS0_10ALayout_RMILNS0_14KReductionTypeE0EEENS0_15BLayout_TC_int4ILi8ELi128EEES4_Li8ELi8EEEvPKvS8_S8_Pviiiiii.num_agpr, 0
	.set _ZN2at6native30tinygemm_m16n8k16_chunk_kernelINS0_10ALayout_RMILNS0_14KReductionTypeE0EEENS0_15BLayout_TC_int4ILi8ELi128EEES4_Li8ELi8EEEvPKvS8_S8_Pviiiiii.numbered_sgpr, 25
	.set _ZN2at6native30tinygemm_m16n8k16_chunk_kernelINS0_10ALayout_RMILNS0_14KReductionTypeE0EEENS0_15BLayout_TC_int4ILi8ELi128EEES4_Li8ELi8EEEvPKvS8_S8_Pviiiiii.num_named_barrier, 0
	.set _ZN2at6native30tinygemm_m16n8k16_chunk_kernelINS0_10ALayout_RMILNS0_14KReductionTypeE0EEENS0_15BLayout_TC_int4ILi8ELi128EEES4_Li8ELi8EEEvPKvS8_S8_Pviiiiii.private_seg_size, 0
	.set _ZN2at6native30tinygemm_m16n8k16_chunk_kernelINS0_10ALayout_RMILNS0_14KReductionTypeE0EEENS0_15BLayout_TC_int4ILi8ELi128EEES4_Li8ELi8EEEvPKvS8_S8_Pviiiiii.uses_vcc, 1
	.set _ZN2at6native30tinygemm_m16n8k16_chunk_kernelINS0_10ALayout_RMILNS0_14KReductionTypeE0EEENS0_15BLayout_TC_int4ILi8ELi128EEES4_Li8ELi8EEEvPKvS8_S8_Pviiiiii.uses_flat_scratch, 0
	.set _ZN2at6native30tinygemm_m16n8k16_chunk_kernelINS0_10ALayout_RMILNS0_14KReductionTypeE0EEENS0_15BLayout_TC_int4ILi8ELi128EEES4_Li8ELi8EEEvPKvS8_S8_Pviiiiii.has_dyn_sized_stack, 0
	.set _ZN2at6native30tinygemm_m16n8k16_chunk_kernelINS0_10ALayout_RMILNS0_14KReductionTypeE0EEENS0_15BLayout_TC_int4ILi8ELi128EEES4_Li8ELi8EEEvPKvS8_S8_Pviiiiii.has_recursion, 0
	.set _ZN2at6native30tinygemm_m16n8k16_chunk_kernelINS0_10ALayout_RMILNS0_14KReductionTypeE0EEENS0_15BLayout_TC_int4ILi8ELi128EEES4_Li8ELi8EEEvPKvS8_S8_Pviiiiii.has_indirect_call, 0
	.section	.AMDGPU.csdata,"",@progbits
; Kernel info:
; codeLenInByte = 5576
; TotalNumSgprs: 31
; NumVgprs: 67
; NumAgprs: 0
; TotalNumVgprs: 67
; ScratchSize: 0
; MemoryBound: 0
; FloatMode: 240
; IeeeMode: 1
; LDSByteSize: 8192 bytes/workgroup (compile time only)
; SGPRBlocks: 3
; VGPRBlocks: 8
; NumSGPRsForWavesPerEU: 31
; NumVGPRsForWavesPerEU: 67
; AccumOffset: 68
; Occupancy: 7
; WaveLimiterHint : 0
; COMPUTE_PGM_RSRC2:SCRATCH_EN: 0
; COMPUTE_PGM_RSRC2:USER_SGPR: 2
; COMPUTE_PGM_RSRC2:TRAP_HANDLER: 0
; COMPUTE_PGM_RSRC2:TGID_X_EN: 1
; COMPUTE_PGM_RSRC2:TGID_Y_EN: 1
; COMPUTE_PGM_RSRC2:TGID_Z_EN: 1
; COMPUTE_PGM_RSRC2:TIDIG_COMP_CNT: 1
; COMPUTE_PGM_RSRC3_GFX90A:ACCUM_OFFSET: 16
; COMPUTE_PGM_RSRC3_GFX90A:TG_SPLIT: 0
	.section	.text._ZN2at6native30tinygemm_m16n8k16_chunk_kernelINS0_10ALayout_RMILNS0_14KReductionTypeE0EEENS0_15BLayout_TC_int4ILi2ELi256EEES4_Li8ELi8EEEvPKvS8_S8_Pviiiiii,"axG",@progbits,_ZN2at6native30tinygemm_m16n8k16_chunk_kernelINS0_10ALayout_RMILNS0_14KReductionTypeE0EEENS0_15BLayout_TC_int4ILi2ELi256EEES4_Li8ELi8EEEvPKvS8_S8_Pviiiiii,comdat
	.protected	_ZN2at6native30tinygemm_m16n8k16_chunk_kernelINS0_10ALayout_RMILNS0_14KReductionTypeE0EEENS0_15BLayout_TC_int4ILi2ELi256EEES4_Li8ELi8EEEvPKvS8_S8_Pviiiiii ; -- Begin function _ZN2at6native30tinygemm_m16n8k16_chunk_kernelINS0_10ALayout_RMILNS0_14KReductionTypeE0EEENS0_15BLayout_TC_int4ILi2ELi256EEES4_Li8ELi8EEEvPKvS8_S8_Pviiiiii
	.globl	_ZN2at6native30tinygemm_m16n8k16_chunk_kernelINS0_10ALayout_RMILNS0_14KReductionTypeE0EEENS0_15BLayout_TC_int4ILi2ELi256EEES4_Li8ELi8EEEvPKvS8_S8_Pviiiiii
	.p2align	8
	.type	_ZN2at6native30tinygemm_m16n8k16_chunk_kernelINS0_10ALayout_RMILNS0_14KReductionTypeE0EEENS0_15BLayout_TC_int4ILi2ELi256EEES4_Li8ELi8EEEvPKvS8_S8_Pviiiiii,@function
_ZN2at6native30tinygemm_m16n8k16_chunk_kernelINS0_10ALayout_RMILNS0_14KReductionTypeE0EEENS0_15BLayout_TC_int4ILi2ELi256EEES4_Li8ELi8EEEvPKvS8_S8_Pviiiiii: ; @_ZN2at6native30tinygemm_m16n8k16_chunk_kernelINS0_10ALayout_RMILNS0_14KReductionTypeE0EEENS0_15BLayout_TC_int4ILi2ELi256EEES4_Li8ELi8EEEvPKvS8_S8_Pviiiiii
; %bb.0:
	s_load_dwordx2 s[6:7], s[0:1], 0x30
	s_load_dwordx4 s[16:19], s[0:1], 0x0
	s_load_dwordx8 s[8:15], s[0:1], 0x10
	v_bfe_u32 v28, v0, 10, 10
	v_and_b32_e32 v26, 0x3ff, v0
	s_waitcnt lgkmcnt(0)
	s_ashr_i32 s0, s7, 31
	s_lshr_b32 s0, s0, 29
	s_add_i32 s0, s7, s0
	v_lshlrev_b32_e32 v0, 3, v28
	s_and_b32 s5, s0, -8
	v_lshl_add_u32 v30, s2, 6, v0
	v_mov_b32_e32 v0, 0
	v_cmp_gt_i32_e32 vcc, s5, v30
	v_mov_b32_e32 v1, v0
	v_mov_b32_e32 v2, v0
	;; [unrolled: 1-line block ×3, first 2 shown]
	v_and_b32_e32 v29, 15, v26
	v_lshrrev_b32_e32 v27, 2, v26
	s_and_saveexec_b64 s[20:21], vcc
	s_cbranch_execz .LBB9_12
; %bb.1:
	v_lshl_or_b32 v1, s4, 4, v29
	s_lshr_b32 s0, s7, 31
	v_mul_lo_u32 v2, s14, v1
	s_add_i32 s0, s7, s0
	v_and_b32_e32 v6, 0xfc, v27
	v_ashrrev_i32_e32 v3, 31, v2
	v_cmp_gt_i32_e32 vcc, s12, v1
	s_ashr_i32 s15, s0, 1
	s_lshl_b32 s0, s2, 10
	v_lshlrev_b32_e32 v1, 7, v28
	v_lshl_add_u64 v[4:5], v[2:3], 1, s[16:17]
	s_mul_i32 s15, s15, s3
	v_lshl_or_b32 v31, s3, 4, v29
	s_lshl_b32 s24, s6, 4
	v_add3_u32 v6, s0, v1, v6
	s_mov_b64 s[22:23], 0
	v_mov_b32_e32 v32, 0xf000f
	v_mov_b32_e32 v33, 0x43004300
	s_mov_b32 s2, 0x5040100
	v_mov_b32_e32 v1, v0
	v_mov_b32_e32 v2, v0
	;; [unrolled: 1-line block ×3, first 2 shown]
	s_branch .LBB9_3
.LBB9_2:                                ;   in Loop: Header=BB9_3 Depth=1
	s_or_b64 exec, exec, s[0:1]
	v_lshrrev_b32_e32 v7, 1, v30
	v_add_u32_e32 v7, s15, v7
	v_lshl_add_u32 v24, v7, 6, v26
	v_ashrrev_i32_e32 v25, 31, v24
	v_ashrrev_i32_e32 v34, 31, v30
	v_lshl_add_u64 v[24:25], v[24:25], 2, s[18:19]
	v_lshrrev_b32_e32 v34, 28, v34
	global_load_dword v7, v[24:25], off
	global_load_dword v36, v[24:25], off offset:256
	v_add_u32_e32 v34, v30, v34
	v_ashrrev_i32_e32 v34, 4, v34
	v_mul_lo_u32 v34, s24, v34
	v_add_lshl_u32 v34, v31, v34, 1
	v_ashrrev_i32_e32 v35, 31, v34
	v_lshl_add_u64 v[34:35], v[34:35], 1, s[8:9]
	global_load_dword v37, v[34:35], off
	global_load_dword v38, v[24:25], off offset:512
	global_load_dword v40, v[24:25], off offset:768
	v_add_u32_e32 v30, 64, v30
	v_add_u32_e32 v6, 0x400, v6
	s_waitcnt vmcnt(4)
	v_lshrrev_b32_e32 v24, 4, v7
	v_lshrrev_b32_e32 v25, 8, v7
	;; [unrolled: 1-line block ×3, first 2 shown]
	;;#ASMSTART
	v_and_or_b32 v7, v7, v32, v33
	;;#ASMEND
	;;#ASMSTART
	v_and_or_b32 v24, v24, v32, v33
	;;#ASMEND
	s_waitcnt vmcnt(3)
	v_lshrrev_b32_e32 v35, 4, v36
	v_and_b32_e32 v43, 0xffff0000, v24
	v_lshlrev_b32_e32 v24, 16, v24
	v_add_f32_e32 v24, 0xc3080000, v24
	v_lshrrev_b32_e32 v39, 8, v36
	v_lshrrev_b32_e32 v41, 12, v36
	;;#ASMSTART
	v_and_or_b32 v25, v25, v32, v33
	;;#ASMEND
	;;#ASMSTART
	v_and_or_b32 v34, v34, v32, v33
	;;#ASMEND
	;; [unrolled: 3-line block ×4, first 2 shown]
	v_cvt_pk_bf16_f32 v24, v24, s0
	v_and_b32_e32 v47, 0xffff0000, v35
	v_lshlrev_b32_e32 v35, 16, v35
	s_waitcnt vmcnt(2)
	v_and_b32_e32 v50, 0xffff0000, v37
	v_lshlrev_b32_e32 v51, 16, v37
	v_lshlrev_b32_e32 v24, 16, v24
	v_and_b32_e32 v44, 0xffff0000, v25
	v_lshlrev_b32_e32 v25, 16, v25
	v_and_b32_e32 v46, 0xffff0000, v36
	v_add_f32_e32 v35, 0xc3080000, v35
	v_fma_f32 v24, v24, v51, v50
	v_add_f32_e32 v25, 0xc3080000, v25
	v_add_f32_e32 v37, 0xc3080000, v46
	;; [unrolled: 1-line block ×3, first 2 shown]
	v_cvt_pk_bf16_f32 v47, v24, s0
	v_cvt_pk_bf16_f32 v24, v35, s0
	;; [unrolled: 1-line block ×3, first 2 shown]
	v_lshlrev_b32_e32 v24, 16, v24
	;;#ASMSTART
	v_and_or_b32 v39, v39, v32, v33
	;;#ASMEND
	v_cvt_pk_bf16_f32 v46, v46, s0
	v_lshlrev_b32_e32 v25, 16, v25
	v_lshlrev_b32_e32 v35, 16, v39
	v_fma_f32 v24, v24, v51, v50
	v_fma_f32 v25, v25, v51, v50
	v_add_f32_e32 v35, 0xc3080000, v35
	v_cvt_pk_bf16_f32 v49, v24, s0
	v_lshlrev_b32_e32 v24, 16, v46
	v_cvt_pk_bf16_f32 v48, v25, s0
	v_and_b32_e32 v25, 0xffff0000, v39
	v_cvt_pk_bf16_f32 v35, v35, s0
	v_fma_f32 v24, v24, v51, v50
	;;#ASMSTART
	v_and_or_b32 v41, v41, v32, v33
	;;#ASMEND
	v_add_f32_e32 v25, 0xc3080000, v25
	v_cvt_pk_bf16_f32 v46, v24, s0
	v_lshlrev_b32_e32 v24, 16, v35
	v_cvt_pk_bf16_f32 v25, v25, s0
	v_and_b32_e32 v39, 0xffff0000, v41
	v_lshlrev_b32_e32 v41, 16, v41
	v_fma_f32 v24, v24, v51, v50
	v_add_f32_e32 v41, 0xc3080000, v41
	v_cvt_pk_bf16_f32 v35, v24, s0
	v_lshlrev_b32_e32 v24, 16, v25
	v_cvt_pk_bf16_f32 v41, v41, s0
	v_fma_f32 v24, v24, v51, v50
	v_add_f32_e32 v39, 0xc3080000, v39
	v_cvt_pk_bf16_f32 v52, v24, s0
	v_lshlrev_b32_e32 v24, 16, v41
	v_cvt_pk_bf16_f32 v39, v39, s0
	v_fma_f32 v24, v24, v51, v50
	v_cvt_pk_bf16_f32 v53, v24, s0
	v_lshlrev_b32_e32 v24, 16, v39
	v_fma_f32 v24, v24, v51, v50
	v_cvt_pk_bf16_f32 v54, v24, s0
	s_waitcnt vmcnt(1)
	v_lshrrev_b32_e32 v24, 4, v38
	v_lshrrev_b32_e32 v25, 8, v38
	;; [unrolled: 1-line block ×3, first 2 shown]
	;;#ASMSTART
	v_and_or_b32 v38, v38, v32, v33
	;;#ASMEND
	v_add_f32_e32 v43, 0xc3080000, v43
	;;#ASMSTART
	v_and_or_b32 v24, v24, v32, v33
	;;#ASMEND
	v_and_b32_e32 v41, 0xffff0000, v38
	v_lshlrev_b32_e32 v38, 16, v38
	v_cvt_pk_bf16_f32 v43, v43, s0
	v_add_f32_e32 v38, 0xc3080000, v38
	v_and_b32_e32 v55, 0xffff0000, v24
	v_lshlrev_b32_e32 v24, 16, v24
	v_lshlrev_b32_e32 v43, 16, v43
	v_cvt_pk_bf16_f32 v38, v38, s0
	v_add_f32_e32 v24, 0xc3080000, v24
	v_fma_f32 v43, v43, v51, v50
	;;#ASMSTART
	v_and_or_b32 v25, v25, v32, v33
	;;#ASMEND
	v_add_f32_e32 v41, 0xc3080000, v41
	v_cvt_pk_bf16_f32 v56, v24, s0
	v_and_b32_e32 v24, 0xffff0000, v25
	v_lshlrev_b32_e32 v38, 16, v38
	v_cvt_pk_bf16_f32 v43, v43, s0
	v_cvt_pk_bf16_f32 v41, v41, s0
	v_add_f32_e32 v24, 0xc3080000, v24
	v_fma_f32 v38, v38, v51, v50
	v_cvt_pk_bf16_f32 v57, v24, s0
	v_lshlrev_b32_e32 v24, 16, v25
	v_perm_b32 v25, v43, v47, s2
	v_cvt_pk_bf16_f32 v47, v38, s0
	v_lshlrev_b32_e32 v38, 16, v41
	v_and_b32_e32 v42, 0xffff0000, v7
	v_lshlrev_b32_e32 v7, 16, v7
	v_fma_f32 v38, v38, v51, v50
	v_add_f32_e32 v42, 0xc3080000, v42
	v_add_f32_e32 v7, 0xc3080000, v7
	;; [unrolled: 1-line block ×3, first 2 shown]
	v_cvt_pk_bf16_f32 v59, v38, s0
	v_lshlrev_b32_e32 v38, 16, v56
	v_cvt_pk_bf16_f32 v42, v42, s0
	v_cvt_pk_bf16_f32 v7, v7, s0
	;; [unrolled: 1-line block ×3, first 2 shown]
	v_fma_f32 v38, v38, v51, v50
	v_lshlrev_b32_e32 v7, 16, v7
	v_lshlrev_b32_e32 v42, 16, v42
	v_add_f32_e32 v24, 0xc3080000, v24
	v_cvt_pk_bf16_f32 v56, v38, s0
	v_lshlrev_b32_e32 v38, 16, v55
	v_and_b32_e32 v45, 0xffff0000, v34
	v_lshlrev_b32_e32 v34, 16, v34
	v_fma_f32 v7, v7, v51, v50
	v_fma_f32 v42, v42, v51, v50
	v_cvt_pk_bf16_f32 v58, v24, s0
	v_fma_f32 v38, v38, v51, v50
	v_add_f32_e32 v45, 0xc3080000, v45
	v_add_f32_e32 v34, 0xc3080000, v34
	v_cvt_pk_bf16_f32 v7, v7, s0
	v_cvt_pk_bf16_f32 v42, v42, s0
	;;#ASMSTART
	v_and_or_b32 v39, v39, v32, v33
	;;#ASMEND
	v_cvt_pk_bf16_f32 v55, v38, s0
	v_lshlrev_b32_e32 v38, 16, v58
	v_add_f32_e32 v44, 0xc3080000, v44
	v_cvt_pk_bf16_f32 v45, v45, s0
	v_cvt_pk_bf16_f32 v34, v34, s0
	v_perm_b32 v24, v42, v7, s2
	v_and_b32_e32 v7, 0xffff0000, v39
	v_lshlrev_b32_e32 v39, 16, v39
	v_fma_f32 v38, v38, v51, v50
	v_cvt_pk_bf16_f32 v44, v44, s0
	v_lshlrev_b32_e32 v34, 16, v34
	v_lshlrev_b32_e32 v45, 16, v45
	v_add_f32_e32 v39, 0xc3080000, v39
	v_cvt_pk_bf16_f32 v58, v38, s0
	v_lshlrev_b32_e32 v38, 16, v57
	v_lshlrev_b32_e32 v44, 16, v44
	v_fma_f32 v34, v34, v51, v50
	v_fma_f32 v45, v45, v51, v50
	v_cvt_pk_bf16_f32 v39, v39, s0
	v_fma_f32 v38, v38, v51, v50
	v_fma_f32 v44, v44, v51, v50
	v_cvt_pk_bf16_f32 v34, v34, s0
	v_cvt_pk_bf16_f32 v45, v45, s0
	;; [unrolled: 1-line block ×3, first 2 shown]
	v_lshlrev_b32_e32 v38, 16, v39
	v_cvt_pk_bf16_f32 v44, v44, s0
	v_fma_f32 v38, v38, v51, v50
	v_perm_b32 v39, v45, v34, s2
	s_waitcnt vmcnt(0)
	v_lshrrev_b32_e32 v34, 8, v40
	v_lshrrev_b32_e32 v42, 12, v40
	v_cvt_pk_bf16_f32 v60, v38, s0
	v_lshrrev_b32_e32 v41, 4, v40
	v_perm_b32 v38, v44, v48, s2
	;;#ASMSTART
	v_and_or_b32 v43, v40, v32, v33
	;;#ASMEND
	;;#ASMSTART
	v_and_or_b32 v44, v41, v32, v33
	;;#ASMEND
	;; [unrolled: 3-line block ×4, first 2 shown]
	v_lshlrev_b32_e32 v36, 16, v36
	v_and_b32_e32 v42, 0xffff0000, v44
	v_add_f32_e32 v42, 0xc3080000, v42
	v_add_f32_e32 v36, 0xc3080000, v36
	v_perm_b32 v41, v46, v49, s2
	v_cvt_pk_bf16_f32 v46, v42, s0
	v_lshlrev_b32_e32 v42, 16, v44
	v_cvt_pk_bf16_f32 v37, v37, s0
	v_cvt_pk_bf16_f32 v36, v36, s0
	v_add_f32_e32 v42, 0xc3080000, v42
	v_lshlrev_b32_e32 v36, 16, v36
	v_lshlrev_b32_e32 v37, 16, v37
	v_cvt_pk_bf16_f32 v44, v42, s0
	v_perm_b32 v42, v52, v35, s2
	v_and_b32_e32 v35, 0xffff0000, v34
	v_lshlrev_b32_e32 v34, 16, v34
	v_fma_f32 v36, v36, v51, v50
	v_fma_f32 v37, v37, v51, v50
	v_add_f32_e32 v34, 0xc3080000, v34
	v_cvt_pk_bf16_f32 v36, v36, s0
	v_cvt_pk_bf16_f32 v37, v37, s0
	;; [unrolled: 1-line block ×3, first 2 shown]
	v_and_b32_e32 v34, 0xffff0000, v45
	v_perm_b32 v40, v37, v36, s2
	v_lshlrev_b32_e32 v37, 16, v43
	v_add_f32_e32 v34, 0xc3080000, v34
	v_add_f32_e32 v37, 0xc3080000, v37
	v_cvt_pk_bf16_f32 v52, v34, s0
	v_lshlrev_b32_e32 v34, 16, v45
	v_and_b32_e32 v36, 0xffff0000, v43
	v_cvt_pk_bf16_f32 v37, v37, s0
	v_add_f32_e32 v34, 0xc3080000, v34
	v_add_f32_e32 v36, 0xc3080000, v36
	v_cvt_pk_bf16_f32 v45, v34, s0
	v_lshlrev_b32_e32 v34, 16, v37
	v_cvt_pk_bf16_f32 v36, v36, s0
	v_fma_f32 v34, v34, v51, v50
	v_perm_b32 v43, v54, v53, s2
	v_cvt_pk_bf16_f32 v53, v34, s0
	v_lshlrev_b32_e32 v34, 16, v36
	v_fma_f32 v34, v34, v51, v50
	v_cvt_pk_bf16_f32 v54, v34, s0
	v_lshlrev_b32_e32 v34, 16, v44
	v_fma_f32 v34, v34, v51, v50
	v_add_f32_e32 v35, 0xc3080000, v35
	v_cvt_pk_bf16_f32 v61, v34, s0
	v_lshlrev_b32_e32 v34, 16, v46
	v_add_f32_e32 v7, 0xc3080000, v7
	v_cvt_pk_bf16_f32 v48, v35, s0
	v_fma_f32 v44, v34, v51, v50
	v_mfma_f32_16x16x16_bf16 v[34:37], v[12:13], v[24:25], 0
	v_lshlrev_b32_e32 v12, 16, v49
	v_cvt_pk_bf16_f32 v7, v7, s0
	v_fma_f32 v25, v12, v51, v50
	v_mfma_f32_16x16x16_bf16 v[10:13], v[10:11], v[38:39], 0
	v_lshlrev_b32_e32 v38, 16, v48
	v_lshlrev_b32_e32 v7, 16, v7
	v_cvt_pk_bf16_f32 v24, v44, s0
	v_fma_f32 v44, v38, v51, v50
	v_mfma_f32_16x16x16_bf16 v[38:41], v[8:9], v[40:41], 0
	v_lshlrev_b32_e32 v8, 16, v45
	v_fma_f32 v7, v7, v51, v50
	v_fma_f32 v8, v8, v51, v50
	v_cvt_pk_bf16_f32 v7, v7, s0
	v_cvt_pk_bf16_f32 v62, v44, s0
	v_mfma_f32_16x16x16_bf16 v[42:45], v[14:15], v[42:43], 0
	v_cvt_pk_bf16_f32 v63, v8, s0
	v_perm_b32 v8, v59, v47, s2
	v_perm_b32 v9, v55, v56, s2
	v_lshlrev_b32_e32 v14, 16, v52
	v_fmac_f32_e32 v50, v14, v51
	v_mfma_f32_16x16x16_bf16 v[46:49], v[20:21], v[8:9], 0
	v_perm_b32 v8, v57, v58, s2
	v_perm_b32 v9, v7, v60, s2
	v_pk_add_f32 v[2:3], v[2:3], v[36:37]
	v_pk_add_f32 v[0:1], v[0:1], v[34:35]
	v_cvt_pk_bf16_f32 v25, v25, s0
	v_mfma_f32_16x16x16_bf16 v[18:21], v[18:19], v[8:9], 0
	v_perm_b32 v8, v54, v53, s2
	v_perm_b32 v9, v24, v61, s2
	v_cvt_pk_bf16_f32 v7, v50, s0
	v_pk_add_f32 v[2:3], v[2:3], v[12:13]
	v_pk_add_f32 v[0:1], v[0:1], v[10:11]
	v_mfma_f32_16x16x16_bf16 v[14:17], v[16:17], v[8:9], 0
	v_perm_b32 v8, v62, v25, s2
	v_perm_b32 v9, v7, v63, s2
	v_pk_add_f32 v[2:3], v[2:3], v[40:41]
	v_pk_add_f32 v[0:1], v[0:1], v[38:39]
	v_mfma_f32_16x16x16_bf16 v[22:25], v[22:23], v[8:9], 0
	v_add_f32_e64 v2, v2, v44
	v_add_f32_e64 v3, v3, v45
	v_pk_add_f32 v[0:1], v[0:1], v[42:43]
	v_pk_add_f32 v[2:3], v[2:3], v[48:49]
	;; [unrolled: 1-line block ×7, first 2 shown]
	v_cmp_le_i32_e64 s[0:1], s5, v30
	v_pk_add_f32 v[2:3], v[2:3], v[24:25]
	v_pk_add_f32 v[0:1], v[0:1], v[22:23]
	s_or_b64 s[22:23], s[0:1], s[22:23]
	s_andn2_b64 exec, exec, s[22:23]
	s_cbranch_execz .LBB9_11
.LBB9_3:                                ; =>This Inner Loop Header: Depth=1
	v_ashrrev_i32_e32 v7, 31, v6
	v_lshl_add_u64 v[24:25], v[6:7], 1, v[4:5]
	v_mov_b32_e32 v8, 0
	v_mov_b32_e32 v12, 0
	;; [unrolled: 1-line block ×5, first 2 shown]
	s_and_saveexec_b64 s[0:1], vcc
	s_cbranch_execz .LBB9_5
; %bb.4:                                ;   in Loop: Header=BB9_3 Depth=1
	global_load_dwordx2 v[12:13], v[24:25], off
	global_load_dwordx2 v[10:11], v[24:25], off offset:32
.LBB9_5:                                ;   in Loop: Header=BB9_3 Depth=1
	s_or_b64 exec, exec, s[0:1]
	v_mov_b32_e32 v9, 0
	v_mov_b32_e32 v14, 0
	;; [unrolled: 1-line block ×3, first 2 shown]
	s_and_saveexec_b64 s[0:1], vcc
	s_cbranch_execz .LBB9_7
; %bb.6:                                ;   in Loop: Header=BB9_3 Depth=1
	global_load_dwordx2 v[8:9], v[24:25], off offset:64
	global_load_dwordx2 v[14:15], v[24:25], off offset:96
.LBB9_7:                                ;   in Loop: Header=BB9_3 Depth=1
	s_or_b64 exec, exec, s[0:1]
	v_mov_b32_e32 v16, 0
	v_mov_b32_e32 v20, 0
	;; [unrolled: 1-line block ×5, first 2 shown]
	s_and_saveexec_b64 s[0:1], vcc
	s_cbranch_execz .LBB9_9
; %bb.8:                                ;   in Loop: Header=BB9_3 Depth=1
	global_load_dwordx2 v[20:21], v[24:25], off offset:128
	global_load_dwordx2 v[18:19], v[24:25], off offset:160
.LBB9_9:                                ;   in Loop: Header=BB9_3 Depth=1
	s_or_b64 exec, exec, s[0:1]
	v_mov_b32_e32 v17, 0
	v_mov_b32_e32 v22, 0
	v_mov_b32_e32 v23, 0
	s_and_saveexec_b64 s[0:1], vcc
	s_cbranch_execz .LBB9_2
; %bb.10:                               ;   in Loop: Header=BB9_3 Depth=1
	global_load_dwordx2 v[16:17], v[24:25], off offset:192
	global_load_dwordx2 v[22:23], v[24:25], off offset:224
	s_branch .LBB9_2
.LBB9_11:
	s_or_b64 exec, exec, s[22:23]
.LBB9_12:
	s_or_b64 exec, exec, s[20:21]
	v_lshl_add_u32 v8, v28, 1, s5
	v_cmp_gt_u32_e32 vcc, s7, v8
	s_and_saveexec_b64 s[0:1], vcc
	s_cbranch_execz .LBB9_16
; %bb.13:
	v_lshl_or_b32 v9, s4, 4, v29
	v_cmp_gt_i32_e32 vcc, s12, v9
	v_mov_b32_e32 v6, 0
	v_mov_b32_e32 v7, 0
	;; [unrolled: 1-line block ×4, first 2 shown]
	s_and_saveexec_b64 s[20:21], vcc
	s_cbranch_execz .LBB9_15
; %bb.14:
	v_mul_lo_u32 v4, s14, v9
	v_and_b32_e32 v6, 0xfc, v27
	v_ashrrev_i32_e32 v5, 31, v4
	v_lshl_add_u32 v6, v8, 4, v6
	v_lshl_add_u64 v[4:5], v[4:5], 1, s[16:17]
	v_ashrrev_i32_e32 v7, 31, v6
	v_lshl_add_u64 v[10:11], v[6:7], 1, v[4:5]
	global_load_dwordx2 v[6:7], v[10:11], off
	global_load_dwordx2 v[4:5], v[10:11], off offset:32
.LBB9_15:
	s_or_b64 exec, exec, s[20:21]
	s_lshr_b32 s2, s7, 31
	s_add_i32 s2, s7, s2
	s_lshr_b32 s2, s2, 1
	s_mul_i32 s2, s2, s3
	v_lshrrev_b32_e32 v9, 1, v8
	v_add_u32_e32 v9, s2, v9
	v_lshl_add_u32 v10, v9, 6, v26
	v_ashrrev_i32_e32 v11, 31, v10
	v_lshl_add_u64 v[10:11], v[10:11], 2, s[18:19]
	global_load_dword v10, v[10:11], off
	v_ashrrev_i32_e32 v11, 31, v8
	v_lshrrev_b32_e32 v11, 28, v11
	v_add_u32_e32 v8, v8, v11
	v_lshrrev_b32_e32 v8, 4, v8
	v_mul_lo_u32 v8, s6, v8
	v_lshl_or_b32 v9, s3, 4, v29
	v_lshlrev_b32_e32 v8, 4, v8
	v_add_lshl_u32 v8, v9, v8, 1
	v_ashrrev_i32_e32 v9, 31, v8
	v_lshl_add_u64 v[8:9], v[8:9], 1, s[8:9]
	global_load_dword v8, v[8:9], off
	v_mov_b32_e32 v9, 0xf000f
	v_mov_b32_e32 v11, 0x43004300
	s_mov_b32 s2, 0x5040100
	s_waitcnt vmcnt(1)
	v_lshrrev_b32_e32 v12, 4, v10
	v_lshrrev_b32_e32 v13, 8, v10
	;; [unrolled: 1-line block ×3, first 2 shown]
	;;#ASMSTART
	v_and_or_b32 v10, v10, v9, v11
	;;#ASMEND
	;;#ASMSTART
	v_and_or_b32 v12, v12, v9, v11
	;;#ASMEND
	;; [unrolled: 3-line block ×4, first 2 shown]
	s_waitcnt vmcnt(0)
	v_and_b32_e32 v14, 0xffff0000, v8
	v_and_b32_e32 v11, 0xffff0000, v10
	v_lshlrev_b32_e32 v10, 16, v10
	v_and_b32_e32 v15, 0xffff0000, v12
	v_lshlrev_b32_e32 v12, 16, v12
	v_add_f32_e32 v11, 0xc3080000, v11
	v_add_f32_e32 v10, 0xc3080000, v10
	v_and_b32_e32 v16, 0xffff0000, v13
	v_lshlrev_b32_e32 v13, 16, v13
	v_and_b32_e32 v17, 0xffff0000, v9
	v_lshlrev_b32_e32 v9, 16, v9
	v_add_f32_e32 v15, 0xc3080000, v15
	v_add_f32_e32 v12, 0xc3080000, v12
	v_cvt_pk_bf16_f32 v11, v11, s0
	v_cvt_pk_bf16_f32 v10, v10, s0
	v_add_f32_e32 v16, 0xc3080000, v16
	v_add_f32_e32 v13, 0xc3080000, v13
	;; [unrolled: 1-line block ×4, first 2 shown]
	v_cvt_pk_bf16_f32 v15, v15, s0
	v_cvt_pk_bf16_f32 v12, v12, s0
	v_lshlrev_b32_e32 v8, 16, v8
	v_cvt_pk_bf16_f32 v16, v16, s0
	v_cvt_pk_bf16_f32 v13, v13, s0
	;; [unrolled: 1-line block ×4, first 2 shown]
	v_lshlrev_b32_e32 v10, 16, v10
	v_lshlrev_b32_e32 v11, 16, v11
	;; [unrolled: 1-line block ×4, first 2 shown]
	v_fma_f32 v10, v10, v8, v14
	v_fma_f32 v11, v11, v8, v14
	v_lshlrev_b32_e32 v13, 16, v13
	v_lshlrev_b32_e32 v16, 16, v16
	;; [unrolled: 1-line block ×4, first 2 shown]
	v_fma_f32 v12, v12, v8, v14
	v_fma_f32 v15, v15, v8, v14
	v_cvt_pk_bf16_f32 v10, v10, s0
	v_cvt_pk_bf16_f32 v11, v11, s0
	v_fma_f32 v13, v13, v8, v14
	v_fma_f32 v16, v16, v8, v14
	v_fma_f32 v9, v9, v8, v14
	v_fmac_f32_e32 v14, v17, v8
	v_cvt_pk_bf16_f32 v12, v12, s0
	v_cvt_pk_bf16_f32 v15, v15, s0
	;; [unrolled: 1-line block ×5, first 2 shown]
	v_perm_b32 v8, v11, v10, s2
	v_perm_b32 v9, v15, v12, s2
	v_cvt_pk_bf16_f32 v11, v14, s0
	v_perm_b32 v10, v16, v13, s2
	v_mfma_f32_16x16x16_bf16 v[6:9], v[6:7], v[8:9], 0
	v_perm_b32 v11, v11, v17, s2
	s_nop 1
	v_mfma_f32_16x16x16_bf16 v[10:13], v[4:5], v[10:11], 0
	s_nop 3
	v_add_f32_e64 v2, v2, v8
	v_add_f32_e64 v3, v3, v9
	v_pk_add_f32 v[0:1], v[0:1], v[6:7]
	s_nop 0
	v_pk_add_f32 v[2:3], v[2:3], v[12:13]
	v_pk_add_f32 v[0:1], v[0:1], v[10:11]
.LBB9_16:
	s_or_b64 exec, exec, s[0:1]
	v_lshlrev_b32_e32 v29, 4, v26
	v_lshl_add_u32 v4, v28, 10, v29
	v_cmp_eq_u32_e32 vcc, 0, v28
	ds_write_b128 v4, v[0:3]
	s_waitcnt lgkmcnt(0)
	s_barrier
	s_and_saveexec_b64 s[0:1], vcc
	s_cbranch_execz .LBB9_25
; %bb.17:
	v_add_u32_e32 v6, 12, v29
	v_add_u32_e32 v4, 0x404, v29
	;; [unrolled: 1-line block ×7, first 2 shown]
	ds_read2st64_b32 v[0:1], v6 offset1:4
	ds_read2st64_b32 v[2:3], v6 offset0:8 offset1:12
	ds_read2_b32 v[10:11], v29 offset0:1 offset1:2
	ds_read2_b32 v[12:13], v4 offset1:1
	ds_read2_b32 v[14:15], v5 offset1:1
	;; [unrolled: 1-line block ×3, first 2 shown]
	ds_read2st64_b32 v[4:5], v6 offset0:16 offset1:20
	v_add_u32_e32 v9, 0x1404, v29
	ds_read2st64_b32 v[6:7], v6 offset0:24 offset1:28
	ds_read2_b32 v[18:19], v8 offset1:1
	ds_read2_b32 v[20:21], v9 offset1:1
	;; [unrolled: 1-line block ×4, first 2 shown]
	v_and_b32_e32 v8, 0xfc, v27
	v_lshl_add_u32 v27, s4, 4, v8
	s_lshl_b32 s0, s3, 4
	v_mul_lo_u32 v30, s13, v27
	v_and_or_b32 v8, v26, 15, s0
	v_ashrrev_i32_e32 v31, 31, v30
	v_lshl_add_u64 v[30:31], v[30:31], 1, s[10:11]
	v_ashrrev_i32_e32 v9, 31, v8
	v_lshl_add_u64 v[8:9], v[8:9], 1, v[30:31]
	v_cmp_gt_i32_e32 vcc, s12, v27
	s_and_saveexec_b64 s[0:1], vcc
	s_cbranch_execz .LBB9_19
; %bb.18:
	ds_read2st64_b32 v[30:31], v29 offset1:4
	ds_read2st64_b32 v[32:33], v29 offset0:8 offset1:12
	ds_read2st64_b32 v[34:35], v29 offset0:16 offset1:20
	;; [unrolled: 1-line block ×3, first 2 shown]
	s_waitcnt lgkmcnt(3)
	v_add_f32_e32 v26, 0, v30
	v_add_f32_e32 v26, v26, v31
	s_waitcnt lgkmcnt(2)
	v_add_f32_e32 v26, v26, v32
	v_add_f32_e32 v26, v26, v33
	;; [unrolled: 3-line block ×4, first 2 shown]
	v_cvt_pk_bf16_f32 v26, v26, s0
	global_store_short v[8:9], v26, off
.LBB9_19:
	s_or_b64 exec, exec, s[0:1]
	v_or_b32_e32 v26, 1, v27
	v_cmp_gt_i32_e32 vcc, s12, v26
	s_and_saveexec_b64 s[0:1], vcc
	s_cbranch_execz .LBB9_21
; %bb.20:
	s_waitcnt lgkmcnt(9)
	v_add_f32_e32 v10, 0, v10
	s_waitcnt lgkmcnt(8)
	v_add_f32_e32 v10, v10, v12
	;; [unrolled: 2-line block ×8, first 2 shown]
	s_ashr_i32 s3, s13, 31
	s_mov_b32 s2, s13
	v_cvt_pk_bf16_f32 v10, v10, s0
	v_lshl_add_u64 v[28:29], s[2:3], 1, v[8:9]
	global_store_short v[28:29], v10, off
.LBB9_21:
	s_or_b64 exec, exec, s[0:1]
	s_waitcnt lgkmcnt(9)
	v_or_b32_e32 v10, 2, v27
	v_cmp_gt_i32_e32 vcc, s12, v10
	s_and_saveexec_b64 s[0:1], vcc
	s_cbranch_execz .LBB9_23
; %bb.22:
	v_add_f32_e32 v10, 0, v11
	s_waitcnt lgkmcnt(8)
	v_add_f32_e32 v10, v10, v13
	s_waitcnt lgkmcnt(7)
	;; [unrolled: 2-line block ×6, first 2 shown]
	v_add_f32_e32 v10, v10, v23
	s_lshl_b32 s2, s13, 1
	s_waitcnt lgkmcnt(0)
	v_add_f32_e32 v10, v10, v25
	s_ashr_i32 s3, s2, 31
	v_cvt_pk_bf16_f32 v12, v10, s0
	v_lshl_add_u64 v[10:11], s[2:3], 1, v[8:9]
	global_store_short v[10:11], v12, off
.LBB9_23:
	s_or_b64 exec, exec, s[0:1]
	v_or_b32_e32 v10, 3, v27
	v_cmp_gt_i32_e32 vcc, s12, v10
	s_and_b64 exec, exec, vcc
	s_cbranch_execz .LBB9_25
; %bb.24:
	v_add_f32_e32 v0, 0, v0
	v_add_f32_e32 v0, v0, v1
	;; [unrolled: 1-line block ×4, first 2 shown]
	s_waitcnt lgkmcnt(5)
	v_add_f32_e32 v0, v0, v4
	v_add_f32_e32 v0, v0, v5
	s_waitcnt lgkmcnt(4)
	v_add_f32_e32 v0, v0, v6
	v_add_f32_e32 v0, v0, v7
	v_cvt_pk_bf16_f32 v2, v0, s0
	s_mul_i32 s0, s13, 3
	s_ashr_i32 s1, s0, 31
	v_lshl_add_u64 v[0:1], s[0:1], 1, v[8:9]
	global_store_short v[0:1], v2, off
.LBB9_25:
	s_endpgm
	.section	.rodata,"a",@progbits
	.p2align	6, 0x0
	.amdhsa_kernel _ZN2at6native30tinygemm_m16n8k16_chunk_kernelINS0_10ALayout_RMILNS0_14KReductionTypeE0EEENS0_15BLayout_TC_int4ILi2ELi256EEES4_Li8ELi8EEEvPKvS8_S8_Pviiiiii
		.amdhsa_group_segment_fixed_size 8192
		.amdhsa_private_segment_fixed_size 0
		.amdhsa_kernarg_size 56
		.amdhsa_user_sgpr_count 2
		.amdhsa_user_sgpr_dispatch_ptr 0
		.amdhsa_user_sgpr_queue_ptr 0
		.amdhsa_user_sgpr_kernarg_segment_ptr 1
		.amdhsa_user_sgpr_dispatch_id 0
		.amdhsa_user_sgpr_kernarg_preload_length 0
		.amdhsa_user_sgpr_kernarg_preload_offset 0
		.amdhsa_user_sgpr_private_segment_size 0
		.amdhsa_uses_dynamic_stack 0
		.amdhsa_enable_private_segment 0
		.amdhsa_system_sgpr_workgroup_id_x 1
		.amdhsa_system_sgpr_workgroup_id_y 1
		.amdhsa_system_sgpr_workgroup_id_z 1
		.amdhsa_system_sgpr_workgroup_info 0
		.amdhsa_system_vgpr_workitem_id 1
		.amdhsa_next_free_vgpr 64
		.amdhsa_next_free_sgpr 25
		.amdhsa_accum_offset 64
		.amdhsa_reserve_vcc 1
		.amdhsa_float_round_mode_32 0
		.amdhsa_float_round_mode_16_64 0
		.amdhsa_float_denorm_mode_32 3
		.amdhsa_float_denorm_mode_16_64 3
		.amdhsa_dx10_clamp 1
		.amdhsa_ieee_mode 1
		.amdhsa_fp16_overflow 0
		.amdhsa_tg_split 0
		.amdhsa_exception_fp_ieee_invalid_op 0
		.amdhsa_exception_fp_denorm_src 0
		.amdhsa_exception_fp_ieee_div_zero 0
		.amdhsa_exception_fp_ieee_overflow 0
		.amdhsa_exception_fp_ieee_underflow 0
		.amdhsa_exception_fp_ieee_inexact 0
		.amdhsa_exception_int_div_zero 0
	.end_amdhsa_kernel
	.section	.text._ZN2at6native30tinygemm_m16n8k16_chunk_kernelINS0_10ALayout_RMILNS0_14KReductionTypeE0EEENS0_15BLayout_TC_int4ILi2ELi256EEES4_Li8ELi8EEEvPKvS8_S8_Pviiiiii,"axG",@progbits,_ZN2at6native30tinygemm_m16n8k16_chunk_kernelINS0_10ALayout_RMILNS0_14KReductionTypeE0EEENS0_15BLayout_TC_int4ILi2ELi256EEES4_Li8ELi8EEEvPKvS8_S8_Pviiiiii,comdat
.Lfunc_end9:
	.size	_ZN2at6native30tinygemm_m16n8k16_chunk_kernelINS0_10ALayout_RMILNS0_14KReductionTypeE0EEENS0_15BLayout_TC_int4ILi2ELi256EEES4_Li8ELi8EEEvPKvS8_S8_Pviiiiii, .Lfunc_end9-_ZN2at6native30tinygemm_m16n8k16_chunk_kernelINS0_10ALayout_RMILNS0_14KReductionTypeE0EEENS0_15BLayout_TC_int4ILi2ELi256EEES4_Li8ELi8EEEvPKvS8_S8_Pviiiiii
                                        ; -- End function
	.set _ZN2at6native30tinygemm_m16n8k16_chunk_kernelINS0_10ALayout_RMILNS0_14KReductionTypeE0EEENS0_15BLayout_TC_int4ILi2ELi256EEES4_Li8ELi8EEEvPKvS8_S8_Pviiiiii.num_vgpr, 64
	.set _ZN2at6native30tinygemm_m16n8k16_chunk_kernelINS0_10ALayout_RMILNS0_14KReductionTypeE0EEENS0_15BLayout_TC_int4ILi2ELi256EEES4_Li8ELi8EEEvPKvS8_S8_Pviiiiii.num_agpr, 0
	.set _ZN2at6native30tinygemm_m16n8k16_chunk_kernelINS0_10ALayout_RMILNS0_14KReductionTypeE0EEENS0_15BLayout_TC_int4ILi2ELi256EEES4_Li8ELi8EEEvPKvS8_S8_Pviiiiii.numbered_sgpr, 25
	.set _ZN2at6native30tinygemm_m16n8k16_chunk_kernelINS0_10ALayout_RMILNS0_14KReductionTypeE0EEENS0_15BLayout_TC_int4ILi2ELi256EEES4_Li8ELi8EEEvPKvS8_S8_Pviiiiii.num_named_barrier, 0
	.set _ZN2at6native30tinygemm_m16n8k16_chunk_kernelINS0_10ALayout_RMILNS0_14KReductionTypeE0EEENS0_15BLayout_TC_int4ILi2ELi256EEES4_Li8ELi8EEEvPKvS8_S8_Pviiiiii.private_seg_size, 0
	.set _ZN2at6native30tinygemm_m16n8k16_chunk_kernelINS0_10ALayout_RMILNS0_14KReductionTypeE0EEENS0_15BLayout_TC_int4ILi2ELi256EEES4_Li8ELi8EEEvPKvS8_S8_Pviiiiii.uses_vcc, 1
	.set _ZN2at6native30tinygemm_m16n8k16_chunk_kernelINS0_10ALayout_RMILNS0_14KReductionTypeE0EEENS0_15BLayout_TC_int4ILi2ELi256EEES4_Li8ELi8EEEvPKvS8_S8_Pviiiiii.uses_flat_scratch, 0
	.set _ZN2at6native30tinygemm_m16n8k16_chunk_kernelINS0_10ALayout_RMILNS0_14KReductionTypeE0EEENS0_15BLayout_TC_int4ILi2ELi256EEES4_Li8ELi8EEEvPKvS8_S8_Pviiiiii.has_dyn_sized_stack, 0
	.set _ZN2at6native30tinygemm_m16n8k16_chunk_kernelINS0_10ALayout_RMILNS0_14KReductionTypeE0EEENS0_15BLayout_TC_int4ILi2ELi256EEES4_Li8ELi8EEEvPKvS8_S8_Pviiiiii.has_recursion, 0
	.set _ZN2at6native30tinygemm_m16n8k16_chunk_kernelINS0_10ALayout_RMILNS0_14KReductionTypeE0EEENS0_15BLayout_TC_int4ILi2ELi256EEES4_Li8ELi8EEEvPKvS8_S8_Pviiiiii.has_indirect_call, 0
	.section	.AMDGPU.csdata,"",@progbits
; Kernel info:
; codeLenInByte = 4072
; TotalNumSgprs: 31
; NumVgprs: 64
; NumAgprs: 0
; TotalNumVgprs: 64
; ScratchSize: 0
; MemoryBound: 0
; FloatMode: 240
; IeeeMode: 1
; LDSByteSize: 8192 bytes/workgroup (compile time only)
; SGPRBlocks: 3
; VGPRBlocks: 7
; NumSGPRsForWavesPerEU: 31
; NumVGPRsForWavesPerEU: 64
; AccumOffset: 64
; Occupancy: 8
; WaveLimiterHint : 1
; COMPUTE_PGM_RSRC2:SCRATCH_EN: 0
; COMPUTE_PGM_RSRC2:USER_SGPR: 2
; COMPUTE_PGM_RSRC2:TRAP_HANDLER: 0
; COMPUTE_PGM_RSRC2:TGID_X_EN: 1
; COMPUTE_PGM_RSRC2:TGID_Y_EN: 1
; COMPUTE_PGM_RSRC2:TGID_Z_EN: 1
; COMPUTE_PGM_RSRC2:TIDIG_COMP_CNT: 1
; COMPUTE_PGM_RSRC3_GFX90A:ACCUM_OFFSET: 15
; COMPUTE_PGM_RSRC3_GFX90A:TG_SPLIT: 0
	.section	.text._ZN2at6native30tinygemm_m16n8k16_chunk_kernelINS0_10ALayout_RMILNS0_14KReductionTypeE0EEENS0_15BLayout_TC_int4ILi4ELi256EEES4_Li8ELi8EEEvPKvS8_S8_Pviiiiii,"axG",@progbits,_ZN2at6native30tinygemm_m16n8k16_chunk_kernelINS0_10ALayout_RMILNS0_14KReductionTypeE0EEENS0_15BLayout_TC_int4ILi4ELi256EEES4_Li8ELi8EEEvPKvS8_S8_Pviiiiii,comdat
	.protected	_ZN2at6native30tinygemm_m16n8k16_chunk_kernelINS0_10ALayout_RMILNS0_14KReductionTypeE0EEENS0_15BLayout_TC_int4ILi4ELi256EEES4_Li8ELi8EEEvPKvS8_S8_Pviiiiii ; -- Begin function _ZN2at6native30tinygemm_m16n8k16_chunk_kernelINS0_10ALayout_RMILNS0_14KReductionTypeE0EEENS0_15BLayout_TC_int4ILi4ELi256EEES4_Li8ELi8EEEvPKvS8_S8_Pviiiiii
	.globl	_ZN2at6native30tinygemm_m16n8k16_chunk_kernelINS0_10ALayout_RMILNS0_14KReductionTypeE0EEENS0_15BLayout_TC_int4ILi4ELi256EEES4_Li8ELi8EEEvPKvS8_S8_Pviiiiii
	.p2align	8
	.type	_ZN2at6native30tinygemm_m16n8k16_chunk_kernelINS0_10ALayout_RMILNS0_14KReductionTypeE0EEENS0_15BLayout_TC_int4ILi4ELi256EEES4_Li8ELi8EEEvPKvS8_S8_Pviiiiii,@function
_ZN2at6native30tinygemm_m16n8k16_chunk_kernelINS0_10ALayout_RMILNS0_14KReductionTypeE0EEENS0_15BLayout_TC_int4ILi4ELi256EEES4_Li8ELi8EEEvPKvS8_S8_Pviiiiii: ; @_ZN2at6native30tinygemm_m16n8k16_chunk_kernelINS0_10ALayout_RMILNS0_14KReductionTypeE0EEENS0_15BLayout_TC_int4ILi4ELi256EEES4_Li8ELi8EEEvPKvS8_S8_Pviiiiii
; %bb.0:
	s_load_dwordx2 s[6:7], s[0:1], 0x30
	s_load_dwordx4 s[16:19], s[0:1], 0x0
	s_load_dwordx8 s[8:15], s[0:1], 0x10
	v_bfe_u32 v28, v0, 10, 10
	v_and_b32_e32 v26, 0x3ff, v0
	s_waitcnt lgkmcnt(0)
	s_ashr_i32 s5, s7, 31
	s_lshr_b32 s0, s5, 29
	s_add_i32 s0, s7, s0
	v_lshlrev_b32_e32 v0, 3, v28
	s_and_b32 s15, s0, -8
	v_lshl_add_u32 v31, s2, 6, v0
	v_mov_b32_e32 v0, 0
	v_cmp_gt_i32_e32 vcc, s15, v31
	v_mov_b32_e32 v1, v0
	v_mov_b32_e32 v2, v0
	;; [unrolled: 1-line block ×3, first 2 shown]
	v_and_b32_e32 v29, 15, v26
	v_lshrrev_b32_e32 v27, 2, v26
	v_lshlrev_b32_e32 v30, 1, v26
	s_and_saveexec_b64 s[20:21], vcc
	s_cbranch_execz .LBB10_12
; %bb.1:
	v_lshl_or_b32 v1, s4, 4, v29
	s_lshr_b32 s0, s5, 30
	v_mul_lo_u32 v2, s14, v1
	s_add_i32 s0, s7, s0
	v_and_b32_e32 v6, 0xfc, v27
	v_ashrrev_i32_e32 v3, 31, v2
	v_cmp_gt_i32_e32 vcc, s12, v1
	s_ashr_i32 s24, s0, 2
	s_lshl_b32 s0, s2, 10
	v_lshlrev_b32_e32 v1, 7, v28
	v_lshl_add_u64 v[4:5], v[2:3], 1, s[16:17]
	s_mul_i32 s24, s24, s3
	v_lshl_or_b32 v32, s3, 4, v29
	s_lshl_b32 s25, s6, 4
	v_add3_u32 v6, s0, v1, v6
	s_mov_b64 s[22:23], 0
	v_mov_b32_e32 v33, 0xf000f
	v_mov_b32_e32 v34, 0x43004300
	s_mov_b32 s2, 0x5040100
	v_mov_b32_e32 v1, v0
	v_mov_b32_e32 v2, v0
	;; [unrolled: 1-line block ×3, first 2 shown]
	s_branch .LBB10_3
.LBB10_2:                               ;   in Loop: Header=BB10_3 Depth=1
	s_or_b64 exec, exec, s[0:1]
	v_lshrrev_b32_e32 v7, 2, v31
	v_add_u32_e32 v7, s24, v7
	v_lshl_add_u32 v24, v7, 7, v30
	v_ashrrev_i32_e32 v25, 31, v24
	v_ashrrev_i32_e32 v7, 31, v31
	v_lshl_add_u64 v[36:37], v[24:25], 2, s[18:19]
	v_lshrrev_b32_e32 v7, 28, v7
	global_load_dwordx2 v[38:39], v[36:37], off
	v_add_u32_e32 v7, v31, v7
	v_ashrrev_i32_e32 v7, 4, v7
	v_mul_lo_u32 v7, s25, v7
	v_add_lshl_u32 v24, v32, v7, 1
	v_ashrrev_i32_e32 v25, 31, v24
	v_lshl_add_u64 v[40:41], v[24:25], 1, s[8:9]
	global_load_dword v7, v[40:41], off
	global_load_dwordx2 v[24:25], v[36:37], off offset:512
	s_waitcnt vmcnt(2)
	;;#ASMSTART
	v_and_or_b32 v35, v38, v33, v34
	;;#ASMEND
	v_add_u32_e32 v31, 64, v31
	v_and_b32_e32 v43, 0xffff0000, v35
	v_lshlrev_b32_e32 v35, 16, v35
	v_add_f32_e32 v43, 0xc3080000, v43
	v_add_f32_e32 v35, 0xc3080000, v35
	v_cvt_pk_bf16_f32 v43, v43, s0
	v_cvt_pk_bf16_f32 v35, v35, s0
	v_lshlrev_b32_e32 v35, 16, v35
	v_lshlrev_b32_e32 v43, 16, v43
	v_add_u32_e32 v6, 0x400, v6
	v_lshrrev_b32_e32 v36, 4, v38
	v_lshrrev_b32_e32 v37, 8, v38
	;;#ASMSTART
	v_and_or_b32 v36, v36, v33, v34
	;;#ASMEND
	;;#ASMSTART
	v_and_or_b32 v37, v37, v33, v34
	;;#ASMEND
	v_lshrrev_b32_e32 v38, 12, v38
	v_and_b32_e32 v44, 0xffff0000, v36
	v_lshlrev_b32_e32 v36, 16, v36
	v_and_b32_e32 v45, 0xffff0000, v37
	v_lshlrev_b32_e32 v37, 16, v37
	v_add_f32_e32 v36, 0xc3080000, v36
	v_add_f32_e32 v37, 0xc3080000, v37
	v_cvt_pk_bf16_f32 v36, v36, s0
	v_lshrrev_b32_e32 v40, 4, v39
	v_lshrrev_b32_e32 v41, 8, v39
	s_waitcnt vmcnt(1)
	v_and_b32_e32 v52, 0xffff0000, v7
	v_lshlrev_b32_e32 v7, 16, v7
	v_cvt_pk_bf16_f32 v37, v37, s0
	v_lshlrev_b32_e32 v36, 16, v36
	v_lshrrev_b32_e32 v42, 12, v39
	;;#ASMSTART
	v_and_or_b32 v38, v38, v33, v34
	;;#ASMEND
	;;#ASMSTART
	v_and_or_b32 v39, v39, v33, v34
	;;#ASMEND
	;; [unrolled: 3-line block ×4, first 2 shown]
	v_lshlrev_b32_e32 v37, 16, v37
	v_and_b32_e32 v49, 0xffff0000, v41
	v_fma_f32 v36, v36, v7, v52
	;;#ASMSTART
	v_and_or_b32 v42, v42, v33, v34
	;;#ASMEND
	v_fma_f32 v37, v37, v7, v52
	v_cvt_pk_bf16_f32 v50, v36, s0
	v_add_f32_e32 v36, 0xc3080000, v49
	v_cvt_pk_bf16_f32 v51, v37, s0
	v_cvt_pk_bf16_f32 v36, v36, s0
	v_lshlrev_b32_e32 v37, 16, v41
	v_and_b32_e32 v41, 0xffff0000, v42
	v_lshlrev_b32_e32 v42, 16, v42
	v_add_f32_e32 v42, 0xc3080000, v42
	v_lshlrev_b32_e32 v36, 16, v36
	v_and_b32_e32 v48, 0xffff0000, v40
	v_lshlrev_b32_e32 v40, 16, v40
	v_cvt_pk_bf16_f32 v42, v42, s0
	v_fma_f32 v36, v36, v7, v52
	v_add_f32_e32 v40, 0xc3080000, v40
	v_add_f32_e32 v41, 0xc3080000, v41
	v_cvt_pk_bf16_f32 v54, v36, s0
	v_lshlrev_b32_e32 v36, 16, v42
	v_cvt_pk_bf16_f32 v40, v40, s0
	v_cvt_pk_bf16_f32 v41, v41, s0
	v_fma_f32 v36, v36, v7, v52
	v_and_b32_e32 v46, 0xffff0000, v38
	v_lshlrev_b32_e32 v38, 16, v38
	v_add_f32_e32 v48, 0xc3080000, v48
	v_add_f32_e32 v37, 0xc3080000, v37
	v_lshlrev_b32_e32 v40, 16, v40
	v_cvt_pk_bf16_f32 v42, v36, s0
	v_lshlrev_b32_e32 v36, 16, v41
	v_add_f32_e32 v46, 0xc3080000, v46
	v_add_f32_e32 v38, 0xc3080000, v38
	v_cvt_pk_bf16_f32 v48, v48, s0
	v_cvt_pk_bf16_f32 v37, v37, s0
	v_fma_f32 v40, v40, v7, v52
	v_fma_f32 v36, v36, v7, v52
	v_cvt_pk_bf16_f32 v46, v46, s0
	v_cvt_pk_bf16_f32 v38, v38, s0
	;; [unrolled: 1-line block ×3, first 2 shown]
	v_lshlrev_b32_e32 v40, 16, v48
	v_lshlrev_b32_e32 v37, 16, v37
	v_cvt_pk_bf16_f32 v55, v36, s0
	s_waitcnt vmcnt(0)
	;;#ASMSTART
	v_and_or_b32 v36, v24, v33, v34
	;;#ASMEND
	v_lshlrev_b32_e32 v38, 16, v38
	v_lshlrev_b32_e32 v46, 16, v46
	v_fma_f32 v40, v40, v7, v52
	v_fma_f32 v37, v37, v7, v52
	v_and_b32_e32 v41, 0xffff0000, v36
	v_lshlrev_b32_e32 v36, 16, v36
	v_fma_f32 v38, v38, v7, v52
	v_fma_f32 v46, v46, v7, v52
	v_cvt_pk_bf16_f32 v48, v40, s0
	v_cvt_pk_bf16_f32 v53, v37, s0
	v_lshrrev_b32_e32 v37, 4, v24
	v_lshrrev_b32_e32 v40, 8, v24
	;; [unrolled: 1-line block ×3, first 2 shown]
	v_add_f32_e32 v36, 0xc3080000, v36
	v_cvt_pk_bf16_f32 v38, v38, s0
	v_cvt_pk_bf16_f32 v46, v46, s0
	;;#ASMSTART
	v_and_or_b32 v37, v37, v33, v34
	;;#ASMEND
	;;#ASMSTART
	v_and_or_b32 v40, v40, v33, v34
	;;#ASMEND
	;; [unrolled: 3-line block ×3, first 2 shown]
	v_add_f32_e32 v41, 0xc3080000, v41
	v_cvt_pk_bf16_f32 v57, v36, s0
	v_and_b32_e32 v36, 0xffff0000, v37
	v_add_f32_e32 v45, 0xc3080000, v45
	v_cvt_pk_bf16_f32 v56, v41, s0
	v_add_f32_e32 v36, 0xc3080000, v36
	v_perm_b32 v41, v46, v38, s2
	v_and_b32_e32 v46, 0xffff0000, v24
	v_lshlrev_b32_e32 v24, 16, v24
	v_and_b32_e32 v47, 0xffff0000, v39
	v_lshlrev_b32_e32 v39, 16, v39
	v_add_f32_e32 v44, 0xc3080000, v44
	v_cvt_pk_bf16_f32 v45, v45, s0
	v_fma_f32 v35, v35, v7, v52
	v_fma_f32 v43, v43, v7, v52
	v_cvt_pk_bf16_f32 v58, v36, s0
	v_lshlrev_b32_e32 v36, 16, v37
	v_add_f32_e32 v24, 0xc3080000, v24
	v_add_f32_e32 v47, 0xc3080000, v47
	;; [unrolled: 1-line block ×3, first 2 shown]
	v_cvt_pk_bf16_f32 v44, v44, s0
	v_lshlrev_b32_e32 v45, 16, v45
	v_cvt_pk_bf16_f32 v35, v35, s0
	v_cvt_pk_bf16_f32 v43, v43, s0
	v_add_f32_e32 v36, 0xc3080000, v36
	v_cvt_pk_bf16_f32 v24, v24, s0
	v_cvt_pk_bf16_f32 v47, v47, s0
	;; [unrolled: 1-line block ×3, first 2 shown]
	v_lshlrev_b32_e32 v44, 16, v44
	v_fma_f32 v45, v45, v7, v52
	v_cvt_pk_bf16_f32 v59, v36, s0
	v_perm_b32 v36, v43, v35, s2
	v_and_b32_e32 v35, 0xffff0000, v40
	v_lshlrev_b32_e32 v40, 16, v40
	v_add_f32_e32 v46, 0xc3080000, v46
	v_lshlrev_b32_e32 v24, 16, v24
	v_fma_f32 v44, v44, v7, v52
	v_cvt_pk_bf16_f32 v45, v45, s0
	v_lshlrev_b32_e32 v39, 16, v39
	v_lshlrev_b32_e32 v47, 16, v47
	v_add_f32_e32 v40, 0xc3080000, v40
	v_cvt_pk_bf16_f32 v46, v46, s0
	v_fma_f32 v24, v24, v7, v52
	v_cvt_pk_bf16_f32 v44, v44, s0
	v_fma_f32 v39, v39, v7, v52
	v_fma_f32 v47, v47, v7, v52
	v_cvt_pk_bf16_f32 v43, v40, s0
	v_perm_b32 v40, v45, v51, s2
	v_lshlrev_b32_e32 v51, 16, v56
	v_lshlrev_b32_e32 v56, 16, v59
	v_cvt_pk_bf16_f32 v59, v24, s0
	v_lshlrev_b32_e32 v24, 16, v46
	v_cvt_pk_bf16_f32 v39, v39, s0
	v_cvt_pk_bf16_f32 v47, v47, s0
	v_perm_b32 v37, v44, v50, s2
	;;#ASMSTART
	v_and_or_b32 v44, v25, v33, v34
	;;#ASMEND
	v_fma_f32 v24, v24, v7, v52
	v_lshrrev_b32_e32 v38, 4, v25
	v_cvt_pk_bf16_f32 v60, v24, s0
	v_perm_b32 v24, v47, v39, s2
	v_and_b32_e32 v39, 0xffff0000, v44
	v_lshlrev_b32_e32 v44, 16, v44
	;;#ASMSTART
	v_and_or_b32 v38, v38, v33, v34
	;;#ASMEND
	v_add_f32_e32 v44, 0xc3080000, v44
	v_lshlrev_b32_e32 v43, 16, v43
	v_cvt_pk_bf16_f32 v47, v44, s0
	v_and_b32_e32 v44, 0xffff0000, v38
	v_lshlrev_b32_e32 v38, 16, v38
	v_fma_f32 v43, v43, v7, v52
	v_add_f32_e32 v38, 0xc3080000, v38
	v_lshrrev_b32_e32 v45, 8, v25
	v_lshlrev_b32_e32 v50, 16, v57
	v_lshlrev_b32_e32 v57, 16, v58
	v_cvt_pk_bf16_f32 v58, v43, s0
	;;#ASMSTART
	v_and_or_b32 v43, v45, v33, v34
	;;#ASMEND
	v_add_f32_e32 v39, 0xc3080000, v39
	v_cvt_pk_bf16_f32 v38, v38, s0
	v_lshrrev_b32_e32 v25, 12, v25
	v_cvt_pk_bf16_f32 v39, v39, s0
	v_add_f32_e32 v44, 0xc3080000, v44
	v_perm_b32 v45, v55, v42, s2
	v_and_b32_e32 v42, 0xffff0000, v43
	v_lshlrev_b32_e32 v43, 16, v43
	v_lshlrev_b32_e32 v38, 16, v38
	;;#ASMSTART
	v_and_or_b32 v46, v25, v33, v34
	;;#ASMEND
	v_perm_b32 v25, v48, v49, s2
	v_cvt_pk_bf16_f32 v48, v44, s0
	v_add_f32_e32 v43, 0xc3080000, v43
	v_lshlrev_b32_e32 v47, 16, v47
	v_lshlrev_b32_e32 v39, 16, v39
	v_fma_f32 v38, v38, v7, v52
	v_add_f32_e32 v42, 0xc3080000, v42
	v_cvt_pk_bf16_f32 v43, v43, s0
	v_and_b32_e32 v49, 0xffff0000, v46
	v_lshlrev_b32_e32 v46, 16, v46
	v_fma_f32 v47, v47, v7, v52
	v_fma_f32 v39, v39, v7, v52
	v_cvt_pk_bf16_f32 v61, v38, s0
	v_lshlrev_b32_e32 v38, 16, v48
	v_add_f32_e32 v35, 0xc3080000, v35
	v_perm_b32 v44, v54, v53, s2
	v_cvt_pk_bf16_f32 v42, v42, s0
	v_add_f32_e32 v46, 0xc3080000, v46
	v_cvt_pk_bf16_f32 v54, v47, s0
	v_cvt_pk_bf16_f32 v55, v39, s0
	v_fma_f32 v47, v38, v7, v52
	v_mfma_f32_16x16x16_bf16 v[36:39], v[12:13], v[36:37], 0
	v_lshlrev_b32_e32 v12, 16, v43
	v_cvt_pk_bf16_f32 v35, v35, s0
	v_cvt_pk_bf16_f32 v46, v46, s0
	v_fma_f32 v43, v12, v7, v52
	v_mfma_f32_16x16x16_bf16 v[10:13], v[10:11], v[40:41], 0
	v_lshlrev_b32_e32 v40, 16, v42
	v_fma_f32 v50, v50, v7, v52
	v_fma_f32 v51, v51, v7, v52
	;; [unrolled: 1-line block ×4, first 2 shown]
	v_lshlrev_b32_e32 v35, 16, v35
	v_add_f32_e32 v49, 0xc3080000, v49
	v_cvt_pk_bf16_f32 v62, v47, s0
	v_cvt_pk_bf16_f32 v63, v43, s0
	v_fma_f32 v47, v40, v7, v52
	v_mfma_f32_16x16x16_bf16 v[40:43], v[8:9], v[24:25], 0
	v_lshlrev_b32_e32 v8, 16, v46
	v_cvt_pk_bf16_f32 v50, v50, s0
	v_cvt_pk_bf16_f32 v51, v51, s0
	;; [unrolled: 1-line block ×4, first 2 shown]
	v_fma_f32 v35, v35, v7, v52
	v_cvt_pk_bf16_f32 v53, v49, s0
	v_fma_f32 v8, v8, v7, v52
	v_cvt_pk_bf16_f32 v35, v35, s0
	v_cvt_pk_bf16_f32 v24, v47, s0
	v_mfma_f32_16x16x16_bf16 v[44:47], v[14:15], v[44:45], 0
	v_cvt_pk_bf16_f32 v25, v8, s0
	v_perm_b32 v8, v51, v50, s2
	v_perm_b32 v9, v57, v56, s2
	v_lshlrev_b32_e32 v14, 16, v53
	v_fmac_f32_e32 v52, v14, v7
	v_mfma_f32_16x16x16_bf16 v[48:51], v[20:21], v[8:9], 0
	v_perm_b32 v8, v35, v58, s2
	v_perm_b32 v9, v60, v59, s2
	v_pk_add_f32 v[2:3], v[2:3], v[38:39]
	v_pk_add_f32 v[0:1], v[0:1], v[36:37]
	v_mfma_f32_16x16x16_bf16 v[18:21], v[18:19], v[8:9], 0
	v_perm_b32 v8, v55, v54, s2
	v_perm_b32 v9, v62, v61, s2
	v_cvt_pk_bf16_f32 v7, v52, s0
	v_pk_add_f32 v[2:3], v[2:3], v[12:13]
	v_pk_add_f32 v[0:1], v[0:1], v[10:11]
	v_mfma_f32_16x16x16_bf16 v[14:17], v[16:17], v[8:9], 0
	v_perm_b32 v8, v24, v63, s2
	v_perm_b32 v9, v7, v25, s2
	v_pk_add_f32 v[2:3], v[2:3], v[42:43]
	v_pk_add_f32 v[0:1], v[0:1], v[40:41]
	v_mfma_f32_16x16x16_bf16 v[22:25], v[22:23], v[8:9], 0
	v_add_f32_e64 v2, v2, v46
	v_add_f32_e64 v3, v3, v47
	v_pk_add_f32 v[0:1], v[0:1], v[44:45]
	v_pk_add_f32 v[2:3], v[2:3], v[50:51]
	;; [unrolled: 1-line block ×7, first 2 shown]
	v_cmp_le_i32_e64 s[0:1], s15, v31
	v_pk_add_f32 v[2:3], v[2:3], v[24:25]
	v_pk_add_f32 v[0:1], v[0:1], v[22:23]
	s_or_b64 s[22:23], s[0:1], s[22:23]
	s_andn2_b64 exec, exec, s[22:23]
	s_cbranch_execz .LBB10_11
.LBB10_3:                               ; =>This Inner Loop Header: Depth=1
	v_ashrrev_i32_e32 v7, 31, v6
	v_lshl_add_u64 v[24:25], v[6:7], 1, v[4:5]
	v_mov_b32_e32 v8, 0
	v_mov_b32_e32 v12, 0
	;; [unrolled: 1-line block ×5, first 2 shown]
	s_and_saveexec_b64 s[0:1], vcc
	s_cbranch_execz .LBB10_5
; %bb.4:                                ;   in Loop: Header=BB10_3 Depth=1
	global_load_dwordx2 v[12:13], v[24:25], off
	global_load_dwordx2 v[10:11], v[24:25], off offset:32
.LBB10_5:                               ;   in Loop: Header=BB10_3 Depth=1
	s_or_b64 exec, exec, s[0:1]
	v_mov_b32_e32 v9, 0
	v_mov_b32_e32 v14, 0
	;; [unrolled: 1-line block ×3, first 2 shown]
	s_and_saveexec_b64 s[0:1], vcc
	s_cbranch_execz .LBB10_7
; %bb.6:                                ;   in Loop: Header=BB10_3 Depth=1
	global_load_dwordx2 v[8:9], v[24:25], off offset:64
	global_load_dwordx2 v[14:15], v[24:25], off offset:96
.LBB10_7:                               ;   in Loop: Header=BB10_3 Depth=1
	s_or_b64 exec, exec, s[0:1]
	v_mov_b32_e32 v16, 0
	v_mov_b32_e32 v20, 0
	;; [unrolled: 1-line block ×5, first 2 shown]
	s_and_saveexec_b64 s[0:1], vcc
	s_cbranch_execz .LBB10_9
; %bb.8:                                ;   in Loop: Header=BB10_3 Depth=1
	global_load_dwordx2 v[20:21], v[24:25], off offset:128
	global_load_dwordx2 v[18:19], v[24:25], off offset:160
.LBB10_9:                               ;   in Loop: Header=BB10_3 Depth=1
	s_or_b64 exec, exec, s[0:1]
	v_mov_b32_e32 v17, 0
	v_mov_b32_e32 v22, 0
	;; [unrolled: 1-line block ×3, first 2 shown]
	s_and_saveexec_b64 s[0:1], vcc
	s_cbranch_execz .LBB10_2
; %bb.10:                               ;   in Loop: Header=BB10_3 Depth=1
	global_load_dwordx2 v[16:17], v[24:25], off offset:192
	global_load_dwordx2 v[22:23], v[24:25], off offset:224
	s_branch .LBB10_2
.LBB10_11:
	s_or_b64 exec, exec, s[22:23]
.LBB10_12:
	s_or_b64 exec, exec, s[20:21]
	v_lshl_add_u32 v14, v28, 2, s15
	v_cmp_gt_u32_e32 vcc, s7, v14
	s_and_saveexec_b64 s[0:1], vcc
	s_cbranch_execz .LBB10_18
; %bb.13:
	v_lshl_or_b32 v8, s4, 4, v29
	v_and_b32_e32 v4, 0xfc, v27
	v_mul_lo_u32 v6, s14, v8
	v_lshl_add_u32 v4, v14, 4, v4
	v_ashrrev_i32_e32 v7, 31, v6
	v_lshl_add_u64 v[6:7], v[6:7], 1, s[16:17]
	v_ashrrev_i32_e32 v5, 31, v4
	v_lshl_add_u64 v[12:13], v[4:5], 1, v[6:7]
	v_cmp_gt_i32_e32 vcc, s12, v8
	v_mov_b32_e32 v4, 0
	v_mov_b32_e32 v8, 0
	;; [unrolled: 1-line block ×5, first 2 shown]
	s_and_saveexec_b64 s[14:15], vcc
	s_cbranch_execz .LBB10_15
; %bb.14:
	global_load_dwordx2 v[8:9], v[12:13], off
	global_load_dwordx2 v[6:7], v[12:13], off offset:32
.LBB10_15:
	s_or_b64 exec, exec, s[14:15]
	v_mov_b32_e32 v5, 0
	v_mov_b32_e32 v10, 0
	;; [unrolled: 1-line block ×3, first 2 shown]
	s_and_saveexec_b64 s[14:15], vcc
	s_cbranch_execz .LBB10_17
; %bb.16:
	global_load_dwordx2 v[4:5], v[12:13], off offset:64
	global_load_dwordx2 v[10:11], v[12:13], off offset:96
.LBB10_17:
	s_or_b64 exec, exec, s[14:15]
	s_lshr_b32 s2, s5, 30
	s_add_i32 s2, s7, s2
	v_ashrrev_i32_e32 v16, 31, v14
	s_lshr_b32 s2, s2, 2
	v_lshrrev_b32_e32 v16, 28, v16
	s_mul_i32 s2, s2, s3
	v_lshrrev_b32_e32 v12, 2, v14
	v_add_u32_e32 v14, v14, v16
	v_add_u32_e32 v12, s2, v12
	v_lshrrev_b32_e32 v14, 4, v14
	v_lshl_add_u32 v12, v12, 7, v30
	v_mul_lo_u32 v14, s6, v14
	v_ashrrev_i32_e32 v13, 31, v12
	v_lshl_or_b32 v15, s3, 4, v29
	v_lshlrev_b32_e32 v14, 4, v14
	v_lshl_add_u64 v[12:13], v[12:13], 2, s[18:19]
	v_add_lshl_u32 v14, v15, v14, 1
	global_load_dwordx2 v[12:13], v[12:13], off
	v_ashrrev_i32_e32 v15, 31, v14
	v_lshl_add_u64 v[14:15], v[14:15], 1, s[8:9]
	global_load_dword v14, v[14:15], off
	v_mov_b32_e32 v15, 0xf000f
	v_mov_b32_e32 v16, 0x43004300
	s_waitcnt vmcnt(1)
	;;#ASMSTART
	v_and_or_b32 v17, v12, v15, v16
	;;#ASMEND
	s_mov_b32 s2, 0x5040100
	v_and_b32_e32 v23, 0xffff0000, v17
	v_lshlrev_b32_e32 v17, 16, v17
	v_add_f32_e32 v17, 0xc3080000, v17
	v_cvt_pk_bf16_f32 v17, v17, s0
	v_lshlrev_b32_e32 v17, 16, v17
	v_lshrrev_b32_e32 v18, 4, v12
	v_lshrrev_b32_e32 v19, 8, v12
	v_lshrrev_b32_e32 v12, 12, v12
	v_lshrrev_b32_e32 v20, 4, v13
	;;#ASMSTART
	v_and_or_b32 v18, v18, v15, v16
	;;#ASMEND
	;;#ASMSTART
	v_and_or_b32 v19, v19, v15, v16
	;;#ASMEND
	;; [unrolled: 3-line block ×3, first 2 shown]
	v_lshrrev_b32_e32 v21, 8, v13
	v_lshrrev_b32_e32 v22, 12, v13
	s_waitcnt vmcnt(0)
	v_and_b32_e32 v24, 0xffff0000, v14
	v_lshlrev_b32_e32 v25, 16, v14
	;;#ASMSTART
	v_and_or_b32 v13, v13, v15, v16
	;;#ASMEND
	;;#ASMSTART
	v_and_or_b32 v14, v20, v15, v16
	;;#ASMEND
	;; [unrolled: 3-line block ×4, first 2 shown]
	v_add_f32_e32 v16, 0xc3080000, v23
	v_and_b32_e32 v23, 0xffff0000, v12
	v_lshlrev_b32_e32 v12, 16, v12
	v_add_f32_e32 v12, 0xc3080000, v12
	v_cvt_pk_bf16_f32 v12, v12, s0
	v_lshlrev_b32_e32 v12, 16, v12
	v_fma_f32 v12, v12, v25, v24
	v_cvt_pk_bf16_f32 v31, v12, s0
	v_lshlrev_b32_e32 v12, 16, v14
	v_add_f32_e32 v12, 0xc3080000, v12
	v_and_b32_e32 v30, 0xffff0000, v14
	v_cvt_pk_bf16_f32 v12, v12, s0
	v_add_f32_e32 v30, 0xc3080000, v30
	v_lshlrev_b32_e32 v12, 16, v12
	v_cvt_pk_bf16_f32 v30, v30, s0
	v_and_b32_e32 v14, 0xffff0000, v20
	v_lshlrev_b32_e32 v20, 16, v20
	v_fma_f32 v12, v12, v25, v24
	v_add_f32_e32 v20, 0xc3080000, v20
	v_cvt_pk_bf16_f32 v34, v12, s0
	v_lshlrev_b32_e32 v12, 16, v30
	v_and_b32_e32 v29, 0xffff0000, v13
	v_lshlrev_b32_e32 v13, 16, v13
	v_cvt_pk_bf16_f32 v20, v20, s0
	v_fma_f32 v12, v12, v25, v24
	v_and_b32_e32 v21, 0xffff0000, v18
	v_lshlrev_b32_e32 v18, 16, v18
	v_add_f32_e32 v13, 0xc3080000, v13
	v_add_f32_e32 v14, 0xc3080000, v14
	v_cvt_pk_bf16_f32 v30, v12, s0
	v_lshlrev_b32_e32 v12, 16, v20
	v_and_b32_e32 v22, 0xffff0000, v19
	v_lshlrev_b32_e32 v19, 16, v19
	v_add_f32_e32 v21, 0xc3080000, v21
	v_add_f32_e32 v18, 0xc3080000, v18
	v_cvt_pk_bf16_f32 v13, v13, s0
	v_cvt_pk_bf16_f32 v14, v14, s0
	v_and_b32_e32 v32, 0xffff0000, v15
	v_lshlrev_b32_e32 v15, 16, v15
	v_fma_f32 v12, v12, v25, v24
	v_cvt_pk_bf16_f32 v16, v16, s0
	v_add_f32_e32 v22, 0xc3080000, v22
	v_add_f32_e32 v19, 0xc3080000, v19
	;; [unrolled: 1-line block ×4, first 2 shown]
	v_cvt_pk_bf16_f32 v21, v21, s0
	v_cvt_pk_bf16_f32 v18, v18, s0
	v_add_f32_e32 v15, 0xc3080000, v15
	v_lshlrev_b32_e32 v13, 16, v13
	v_cvt_pk_bf16_f32 v20, v12, s0
	v_lshlrev_b32_e32 v12, 16, v14
	v_cvt_pk_bf16_f32 v22, v22, s0
	v_cvt_pk_bf16_f32 v19, v19, s0
	;; [unrolled: 1-line block ×3, first 2 shown]
	v_lshlrev_b32_e32 v16, 16, v16
	v_cvt_pk_bf16_f32 v29, v29, s0
	v_lshlrev_b32_e32 v18, 16, v18
	v_lshlrev_b32_e32 v21, 16, v21
	v_cvt_pk_bf16_f32 v15, v15, s0
	v_fma_f32 v13, v13, v25, v24
	v_fma_f32 v12, v12, v25, v24
	;; [unrolled: 1-line block ×4, first 2 shown]
	v_lshlrev_b32_e32 v19, 16, v19
	v_lshlrev_b32_e32 v22, 16, v22
	;; [unrolled: 1-line block ×3, first 2 shown]
	v_fma_f32 v18, v18, v25, v24
	v_fma_f32 v21, v21, v25, v24
	v_add_f32_e32 v32, 0xc3080000, v32
	v_cvt_pk_bf16_f32 v33, v13, s0
	v_lshlrev_b32_e32 v13, 16, v29
	v_cvt_pk_bf16_f32 v35, v12, s0
	v_lshlrev_b32_e32 v12, 16, v15
	v_cvt_pk_bf16_f32 v17, v17, s0
	v_cvt_pk_bf16_f32 v16, v16, s0
	v_fma_f32 v19, v19, v25, v24
	v_fma_f32 v22, v22, v25, v24
	;; [unrolled: 1-line block ×3, first 2 shown]
	v_cvt_pk_bf16_f32 v18, v18, s0
	v_cvt_pk_bf16_f32 v21, v21, s0
	;; [unrolled: 1-line block ×3, first 2 shown]
	v_fma_f32 v13, v13, v25, v24
	v_fma_f32 v12, v12, v25, v24
	v_cvt_pk_bf16_f32 v19, v19, s0
	v_cvt_pk_bf16_f32 v22, v22, s0
	;; [unrolled: 1-line block ×5, first 2 shown]
	v_perm_b32 v12, v16, v17, s2
	v_perm_b32 v13, v21, v18, s2
	v_lshlrev_b32_e32 v16, 16, v32
	v_fmac_f32_e32 v24, v16, v25
	v_mfma_f32_16x16x16_bf16 v[12:15], v[8:9], v[12:13], 0
	v_perm_b32 v8, v22, v19, s2
	v_perm_b32 v9, v23, v31, s2
	;; [unrolled: 1-line block ×4, first 2 shown]
	v_mfma_f32_16x16x16_bf16 v[6:9], v[6:7], v[8:9], 0
	s_nop 2
	v_add_f32_e64 v2, v2, v14
	v_add_f32_e64 v3, v3, v15
	v_pk_add_f32 v[0:1], v[0:1], v[12:13]
	v_mfma_f32_16x16x16_bf16 v[16:19], v[4:5], v[16:17], 0
	v_cvt_pk_bf16_f32 v5, v24, s0
	v_perm_b32 v4, v35, v20, s2
	v_perm_b32 v5, v5, v36, s2
	v_pk_add_f32 v[2:3], v[2:3], v[8:9]
	v_pk_add_f32 v[0:1], v[0:1], v[6:7]
	v_mfma_f32_16x16x16_bf16 v[20:23], v[10:11], v[4:5], 0
	s_nop 1
	v_add_f32_e64 v2, v2, v18
	v_add_f32_e64 v3, v3, v19
	v_pk_add_f32 v[0:1], v[0:1], v[16:17]
	s_nop 2
	v_pk_add_f32 v[2:3], v[2:3], v[22:23]
	v_pk_add_f32 v[0:1], v[0:1], v[20:21]
.LBB10_18:
	s_or_b64 exec, exec, s[0:1]
	v_lshlrev_b32_e32 v29, 4, v26
	v_lshl_add_u32 v4, v28, 10, v29
	v_cmp_eq_u32_e32 vcc, 0, v28
	ds_write_b128 v4, v[0:3]
	s_waitcnt lgkmcnt(0)
	s_barrier
	s_and_saveexec_b64 s[0:1], vcc
	s_cbranch_execz .LBB10_27
; %bb.19:
	v_add_u32_e32 v6, 12, v29
	v_add_u32_e32 v4, 0x404, v29
	;; [unrolled: 1-line block ×7, first 2 shown]
	ds_read2st64_b32 v[0:1], v6 offset1:4
	ds_read2st64_b32 v[2:3], v6 offset0:8 offset1:12
	ds_read2_b32 v[10:11], v29 offset0:1 offset1:2
	ds_read2_b32 v[12:13], v4 offset1:1
	ds_read2_b32 v[14:15], v5 offset1:1
	;; [unrolled: 1-line block ×3, first 2 shown]
	ds_read2st64_b32 v[4:5], v6 offset0:16 offset1:20
	v_add_u32_e32 v9, 0x1404, v29
	ds_read2st64_b32 v[6:7], v6 offset0:24 offset1:28
	ds_read2_b32 v[18:19], v8 offset1:1
	ds_read2_b32 v[20:21], v9 offset1:1
	;; [unrolled: 1-line block ×4, first 2 shown]
	v_and_b32_e32 v8, 0xfc, v27
	v_lshl_add_u32 v27, s4, 4, v8
	s_lshl_b32 s0, s3, 4
	v_mul_lo_u32 v30, s13, v27
	v_and_or_b32 v8, v26, 15, s0
	v_ashrrev_i32_e32 v31, 31, v30
	v_lshl_add_u64 v[30:31], v[30:31], 1, s[10:11]
	v_ashrrev_i32_e32 v9, 31, v8
	v_lshl_add_u64 v[8:9], v[8:9], 1, v[30:31]
	v_cmp_gt_i32_e32 vcc, s12, v27
	s_and_saveexec_b64 s[0:1], vcc
	s_cbranch_execz .LBB10_21
; %bb.20:
	ds_read2st64_b32 v[30:31], v29 offset1:4
	ds_read2st64_b32 v[32:33], v29 offset0:8 offset1:12
	ds_read2st64_b32 v[34:35], v29 offset0:16 offset1:20
	;; [unrolled: 1-line block ×3, first 2 shown]
	s_waitcnt lgkmcnt(3)
	v_add_f32_e32 v26, 0, v30
	v_add_f32_e32 v26, v26, v31
	s_waitcnt lgkmcnt(2)
	v_add_f32_e32 v26, v26, v32
	v_add_f32_e32 v26, v26, v33
	;; [unrolled: 3-line block ×4, first 2 shown]
	v_cvt_pk_bf16_f32 v26, v26, s0
	global_store_short v[8:9], v26, off
.LBB10_21:
	s_or_b64 exec, exec, s[0:1]
	v_or_b32_e32 v26, 1, v27
	v_cmp_gt_i32_e32 vcc, s12, v26
	s_and_saveexec_b64 s[0:1], vcc
	s_cbranch_execz .LBB10_23
; %bb.22:
	s_waitcnt lgkmcnt(9)
	v_add_f32_e32 v10, 0, v10
	s_waitcnt lgkmcnt(8)
	v_add_f32_e32 v10, v10, v12
	;; [unrolled: 2-line block ×8, first 2 shown]
	s_ashr_i32 s3, s13, 31
	s_mov_b32 s2, s13
	v_cvt_pk_bf16_f32 v10, v10, s0
	v_lshl_add_u64 v[28:29], s[2:3], 1, v[8:9]
	global_store_short v[28:29], v10, off
.LBB10_23:
	s_or_b64 exec, exec, s[0:1]
	s_waitcnt lgkmcnt(9)
	v_or_b32_e32 v10, 2, v27
	v_cmp_gt_i32_e32 vcc, s12, v10
	s_and_saveexec_b64 s[0:1], vcc
	s_cbranch_execz .LBB10_25
; %bb.24:
	v_add_f32_e32 v10, 0, v11
	s_waitcnt lgkmcnt(8)
	v_add_f32_e32 v10, v10, v13
	s_waitcnt lgkmcnt(7)
	;; [unrolled: 2-line block ×6, first 2 shown]
	v_add_f32_e32 v10, v10, v23
	s_lshl_b32 s2, s13, 1
	s_waitcnt lgkmcnt(0)
	v_add_f32_e32 v10, v10, v25
	s_ashr_i32 s3, s2, 31
	v_cvt_pk_bf16_f32 v12, v10, s0
	v_lshl_add_u64 v[10:11], s[2:3], 1, v[8:9]
	global_store_short v[10:11], v12, off
.LBB10_25:
	s_or_b64 exec, exec, s[0:1]
	v_or_b32_e32 v10, 3, v27
	v_cmp_gt_i32_e32 vcc, s12, v10
	s_and_b64 exec, exec, vcc
	s_cbranch_execz .LBB10_27
; %bb.26:
	v_add_f32_e32 v0, 0, v0
	v_add_f32_e32 v0, v0, v1
	;; [unrolled: 1-line block ×4, first 2 shown]
	s_waitcnt lgkmcnt(5)
	v_add_f32_e32 v0, v0, v4
	v_add_f32_e32 v0, v0, v5
	s_waitcnt lgkmcnt(4)
	v_add_f32_e32 v0, v0, v6
	v_add_f32_e32 v0, v0, v7
	v_cvt_pk_bf16_f32 v2, v0, s0
	s_mul_i32 s0, s13, 3
	s_ashr_i32 s1, s0, 31
	v_lshl_add_u64 v[0:1], s[0:1], 1, v[8:9]
	global_store_short v[0:1], v2, off
.LBB10_27:
	s_endpgm
	.section	.rodata,"a",@progbits
	.p2align	6, 0x0
	.amdhsa_kernel _ZN2at6native30tinygemm_m16n8k16_chunk_kernelINS0_10ALayout_RMILNS0_14KReductionTypeE0EEENS0_15BLayout_TC_int4ILi4ELi256EEES4_Li8ELi8EEEvPKvS8_S8_Pviiiiii
		.amdhsa_group_segment_fixed_size 8192
		.amdhsa_private_segment_fixed_size 0
		.amdhsa_kernarg_size 56
		.amdhsa_user_sgpr_count 2
		.amdhsa_user_sgpr_dispatch_ptr 0
		.amdhsa_user_sgpr_queue_ptr 0
		.amdhsa_user_sgpr_kernarg_segment_ptr 1
		.amdhsa_user_sgpr_dispatch_id 0
		.amdhsa_user_sgpr_kernarg_preload_length 0
		.amdhsa_user_sgpr_kernarg_preload_offset 0
		.amdhsa_user_sgpr_private_segment_size 0
		.amdhsa_uses_dynamic_stack 0
		.amdhsa_enable_private_segment 0
		.amdhsa_system_sgpr_workgroup_id_x 1
		.amdhsa_system_sgpr_workgroup_id_y 1
		.amdhsa_system_sgpr_workgroup_id_z 1
		.amdhsa_system_sgpr_workgroup_info 0
		.amdhsa_system_vgpr_workitem_id 1
		.amdhsa_next_free_vgpr 64
		.amdhsa_next_free_sgpr 26
		.amdhsa_accum_offset 64
		.amdhsa_reserve_vcc 1
		.amdhsa_float_round_mode_32 0
		.amdhsa_float_round_mode_16_64 0
		.amdhsa_float_denorm_mode_32 3
		.amdhsa_float_denorm_mode_16_64 3
		.amdhsa_dx10_clamp 1
		.amdhsa_ieee_mode 1
		.amdhsa_fp16_overflow 0
		.amdhsa_tg_split 0
		.amdhsa_exception_fp_ieee_invalid_op 0
		.amdhsa_exception_fp_denorm_src 0
		.amdhsa_exception_fp_ieee_div_zero 0
		.amdhsa_exception_fp_ieee_overflow 0
		.amdhsa_exception_fp_ieee_underflow 0
		.amdhsa_exception_fp_ieee_inexact 0
		.amdhsa_exception_int_div_zero 0
	.end_amdhsa_kernel
	.section	.text._ZN2at6native30tinygemm_m16n8k16_chunk_kernelINS0_10ALayout_RMILNS0_14KReductionTypeE0EEENS0_15BLayout_TC_int4ILi4ELi256EEES4_Li8ELi8EEEvPKvS8_S8_Pviiiiii,"axG",@progbits,_ZN2at6native30tinygemm_m16n8k16_chunk_kernelINS0_10ALayout_RMILNS0_14KReductionTypeE0EEENS0_15BLayout_TC_int4ILi4ELi256EEES4_Li8ELi8EEEvPKvS8_S8_Pviiiiii,comdat
.Lfunc_end10:
	.size	_ZN2at6native30tinygemm_m16n8k16_chunk_kernelINS0_10ALayout_RMILNS0_14KReductionTypeE0EEENS0_15BLayout_TC_int4ILi4ELi256EEES4_Li8ELi8EEEvPKvS8_S8_Pviiiiii, .Lfunc_end10-_ZN2at6native30tinygemm_m16n8k16_chunk_kernelINS0_10ALayout_RMILNS0_14KReductionTypeE0EEENS0_15BLayout_TC_int4ILi4ELi256EEES4_Li8ELi8EEEvPKvS8_S8_Pviiiiii
                                        ; -- End function
	.set _ZN2at6native30tinygemm_m16n8k16_chunk_kernelINS0_10ALayout_RMILNS0_14KReductionTypeE0EEENS0_15BLayout_TC_int4ILi4ELi256EEES4_Li8ELi8EEEvPKvS8_S8_Pviiiiii.num_vgpr, 64
	.set _ZN2at6native30tinygemm_m16n8k16_chunk_kernelINS0_10ALayout_RMILNS0_14KReductionTypeE0EEENS0_15BLayout_TC_int4ILi4ELi256EEES4_Li8ELi8EEEvPKvS8_S8_Pviiiiii.num_agpr, 0
	.set _ZN2at6native30tinygemm_m16n8k16_chunk_kernelINS0_10ALayout_RMILNS0_14KReductionTypeE0EEENS0_15BLayout_TC_int4ILi4ELi256EEES4_Li8ELi8EEEvPKvS8_S8_Pviiiiii.numbered_sgpr, 26
	.set _ZN2at6native30tinygemm_m16n8k16_chunk_kernelINS0_10ALayout_RMILNS0_14KReductionTypeE0EEENS0_15BLayout_TC_int4ILi4ELi256EEES4_Li8ELi8EEEvPKvS8_S8_Pviiiiii.num_named_barrier, 0
	.set _ZN2at6native30tinygemm_m16n8k16_chunk_kernelINS0_10ALayout_RMILNS0_14KReductionTypeE0EEENS0_15BLayout_TC_int4ILi4ELi256EEES4_Li8ELi8EEEvPKvS8_S8_Pviiiiii.private_seg_size, 0
	.set _ZN2at6native30tinygemm_m16n8k16_chunk_kernelINS0_10ALayout_RMILNS0_14KReductionTypeE0EEENS0_15BLayout_TC_int4ILi4ELi256EEES4_Li8ELi8EEEvPKvS8_S8_Pviiiiii.uses_vcc, 1
	.set _ZN2at6native30tinygemm_m16n8k16_chunk_kernelINS0_10ALayout_RMILNS0_14KReductionTypeE0EEENS0_15BLayout_TC_int4ILi4ELi256EEES4_Li8ELi8EEEvPKvS8_S8_Pviiiiii.uses_flat_scratch, 0
	.set _ZN2at6native30tinygemm_m16n8k16_chunk_kernelINS0_10ALayout_RMILNS0_14KReductionTypeE0EEENS0_15BLayout_TC_int4ILi4ELi256EEES4_Li8ELi8EEEvPKvS8_S8_Pviiiiii.has_dyn_sized_stack, 0
	.set _ZN2at6native30tinygemm_m16n8k16_chunk_kernelINS0_10ALayout_RMILNS0_14KReductionTypeE0EEENS0_15BLayout_TC_int4ILi4ELi256EEES4_Li8ELi8EEEvPKvS8_S8_Pviiiiii.has_recursion, 0
	.set _ZN2at6native30tinygemm_m16n8k16_chunk_kernelINS0_10ALayout_RMILNS0_14KReductionTypeE0EEENS0_15BLayout_TC_int4ILi4ELi256EEES4_Li8ELi8EEEvPKvS8_S8_Pviiiiii.has_indirect_call, 0
	.section	.AMDGPU.csdata,"",@progbits
; Kernel info:
; codeLenInByte = 4596
; TotalNumSgprs: 32
; NumVgprs: 64
; NumAgprs: 0
; TotalNumVgprs: 64
; ScratchSize: 0
; MemoryBound: 0
; FloatMode: 240
; IeeeMode: 1
; LDSByteSize: 8192 bytes/workgroup (compile time only)
; SGPRBlocks: 3
; VGPRBlocks: 7
; NumSGPRsForWavesPerEU: 32
; NumVGPRsForWavesPerEU: 64
; AccumOffset: 64
; Occupancy: 8
; WaveLimiterHint : 1
; COMPUTE_PGM_RSRC2:SCRATCH_EN: 0
; COMPUTE_PGM_RSRC2:USER_SGPR: 2
; COMPUTE_PGM_RSRC2:TRAP_HANDLER: 0
; COMPUTE_PGM_RSRC2:TGID_X_EN: 1
; COMPUTE_PGM_RSRC2:TGID_Y_EN: 1
; COMPUTE_PGM_RSRC2:TGID_Z_EN: 1
; COMPUTE_PGM_RSRC2:TIDIG_COMP_CNT: 1
; COMPUTE_PGM_RSRC3_GFX90A:ACCUM_OFFSET: 15
; COMPUTE_PGM_RSRC3_GFX90A:TG_SPLIT: 0
	.section	.text._ZN2at6native30tinygemm_m16n8k16_chunk_kernelINS0_10ALayout_RMILNS0_14KReductionTypeE0EEENS0_15BLayout_TC_int4ILi8ELi256EEES4_Li8ELi8EEEvPKvS8_S8_Pviiiiii,"axG",@progbits,_ZN2at6native30tinygemm_m16n8k16_chunk_kernelINS0_10ALayout_RMILNS0_14KReductionTypeE0EEENS0_15BLayout_TC_int4ILi8ELi256EEES4_Li8ELi8EEEvPKvS8_S8_Pviiiiii,comdat
	.protected	_ZN2at6native30tinygemm_m16n8k16_chunk_kernelINS0_10ALayout_RMILNS0_14KReductionTypeE0EEENS0_15BLayout_TC_int4ILi8ELi256EEES4_Li8ELi8EEEvPKvS8_S8_Pviiiiii ; -- Begin function _ZN2at6native30tinygemm_m16n8k16_chunk_kernelINS0_10ALayout_RMILNS0_14KReductionTypeE0EEENS0_15BLayout_TC_int4ILi8ELi256EEES4_Li8ELi8EEEvPKvS8_S8_Pviiiiii
	.globl	_ZN2at6native30tinygemm_m16n8k16_chunk_kernelINS0_10ALayout_RMILNS0_14KReductionTypeE0EEENS0_15BLayout_TC_int4ILi8ELi256EEES4_Li8ELi8EEEvPKvS8_S8_Pviiiiii
	.p2align	8
	.type	_ZN2at6native30tinygemm_m16n8k16_chunk_kernelINS0_10ALayout_RMILNS0_14KReductionTypeE0EEENS0_15BLayout_TC_int4ILi8ELi256EEES4_Li8ELi8EEEvPKvS8_S8_Pviiiiii,@function
_ZN2at6native30tinygemm_m16n8k16_chunk_kernelINS0_10ALayout_RMILNS0_14KReductionTypeE0EEENS0_15BLayout_TC_int4ILi8ELi256EEES4_Li8ELi8EEEvPKvS8_S8_Pviiiiii: ; @_ZN2at6native30tinygemm_m16n8k16_chunk_kernelINS0_10ALayout_RMILNS0_14KReductionTypeE0EEENS0_15BLayout_TC_int4ILi8ELi256EEES4_Li8ELi8EEEvPKvS8_S8_Pviiiiii
; %bb.0:
	s_load_dwordx2 s[6:7], s[0:1], 0x30
	s_load_dwordx4 s[16:19], s[0:1], 0x0
	s_load_dwordx8 s[8:15], s[0:1], 0x10
	v_bfe_u32 v30, v0, 10, 10
	v_lshlrev_b32_e32 v33, 3, v30
	s_waitcnt lgkmcnt(0)
	s_ashr_i32 s0, s7, 31
	s_lshr_b32 s0, s0, 29
	s_add_i32 s0, s7, s0
	v_and_b32_e32 v28, 0x3ff, v0
	s_ashr_i32 s5, s0, 3
	s_and_b32 s15, s0, -8
	v_lshl_add_u32 v34, s2, 6, v33
	v_mov_b32_e32 v0, 0
	v_cmp_gt_i32_e32 vcc, s15, v34
	v_mov_b32_e32 v1, v0
	v_mov_b32_e32 v2, v0
	;; [unrolled: 1-line block ×3, first 2 shown]
	s_mul_i32 s5, s5, s3
	v_and_b32_e32 v31, 15, v28
	v_lshrrev_b32_e32 v29, 2, v28
	v_lshlrev_b32_e32 v32, 2, v28
	s_and_saveexec_b64 s[20:21], vcc
	s_cbranch_execz .LBB11_12
; %bb.1:
	v_lshl_or_b32 v1, s4, 4, v31
	v_mul_lo_u32 v2, s14, v1
	v_and_b32_e32 v4, 0xfc, v29
	v_ashrrev_i32_e32 v3, 31, v2
	v_cmp_gt_i32_e32 vcc, s12, v1
	s_lshl_b32 s0, s2, 10
	v_lshlrev_b32_e32 v1, 7, v30
	v_lshl_add_u64 v[8:9], v[2:3], 1, s[16:17]
	v_lshl_or_b32 v35, s3, 4, v31
	s_lshl_b32 s24, s6, 4
	v_add3_u32 v10, s0, v1, v4
	s_mov_b64 s[22:23], 0
	v_mov_b32_e32 v36, 0xf000f
	v_mov_b32_e32 v37, 0x43004300
	s_mov_b32 s2, 0x5040100
	v_mov_b32_e32 v1, v0
	v_mov_b32_e32 v2, v0
	;; [unrolled: 1-line block ×3, first 2 shown]
	s_branch .LBB11_3
.LBB11_2:                               ;   in Loop: Header=BB11_3 Depth=1
	s_or_b64 exec, exec, s[0:1]
	v_lshrrev_b32_e32 v4, 3, v34
	v_add_u32_e32 v4, s5, v4
	v_lshl_add_u32 v4, v4, 8, v32
	v_ashrrev_i32_e32 v11, 31, v34
	v_ashrrev_i32_e32 v5, 31, v4
	v_lshrrev_b32_e32 v11, 28, v11
	v_lshl_add_u64 v[4:5], v[4:5], 2, s[18:19]
	v_add_u32_e32 v11, v34, v11
	global_load_dwordx4 v[4:7], v[4:5], off
	v_ashrrev_i32_e32 v11, 4, v11
	v_mul_lo_u32 v11, s24, v11
	v_add_lshl_u32 v38, v35, v11, 1
	v_ashrrev_i32_e32 v39, 31, v38
	v_lshl_add_u64 v[38:39], v[38:39], 1, s[8:9]
	global_load_dword v11, v[38:39], off
	s_waitcnt vmcnt(1)
	;;#ASMSTART
	v_and_or_b32 v38, v4, v36, v37
	;;#ASMEND
	v_add_u32_e32 v34, 64, v34
	v_and_b32_e32 v50, 0xffff0000, v38
	v_lshlrev_b32_e32 v38, 16, v38
	v_add_f32_e32 v50, 0xc3080000, v50
	v_add_f32_e32 v38, 0xc3080000, v38
	v_cvt_pk_bf16_f32 v50, v50, s0
	v_cvt_pk_bf16_f32 v38, v38, s0
	v_lshlrev_b32_e32 v38, 16, v38
	v_lshlrev_b32_e32 v50, 16, v50
	v_add_u32_e32 v10, 0x400, v10
	v_lshrrev_b32_e32 v39, 4, v4
	v_lshrrev_b32_e32 v40, 8, v4
	;; [unrolled: 1-line block ×3, first 2 shown]
	;;#ASMSTART
	v_and_or_b32 v39, v39, v36, v37
	;;#ASMEND
	;;#ASMSTART
	v_and_or_b32 v40, v40, v36, v37
	;;#ASMEND
	;; [unrolled: 3-line block ×3, first 2 shown]
	v_lshrrev_b32_e32 v41, 4, v5
	v_and_b32_e32 v53, 0xffff0000, v4
	v_lshlrev_b32_e32 v4, 16, v4
	v_add_f32_e32 v4, 0xc3080000, v4
	v_lshrrev_b32_e32 v42, 8, v5
	v_lshrrev_b32_e32 v43, 12, v5
	;;#ASMSTART
	v_and_or_b32 v5, v5, v36, v37
	;;#ASMEND
	v_cvt_pk_bf16_f32 v4, v4, s0
	;;#ASMSTART
	v_and_or_b32 v41, v41, v36, v37
	;;#ASMEND
	;;#ASMSTART
	v_and_or_b32 v42, v42, v36, v37
	;;#ASMEND
	v_and_b32_e32 v54, 0xffff0000, v5
	v_lshlrev_b32_e32 v5, 16, v5
	v_and_b32_e32 v56, 0xffff0000, v42
	s_waitcnt vmcnt(0)
	v_and_b32_e32 v57, 0xffff0000, v11
	v_lshlrev_b32_e32 v11, 16, v11
	v_lshlrev_b32_e32 v4, 16, v4
	;;#ASMSTART
	v_and_or_b32 v43, v43, v36, v37
	;;#ASMEND
	v_add_f32_e32 v5, 0xc3080000, v5
	v_add_f32_e32 v56, 0xc3080000, v56
	v_fma_f32 v4, v4, v11, v57
	v_cvt_pk_bf16_f32 v5, v5, s0
	v_cvt_pk_bf16_f32 v58, v4, s0
	;; [unrolled: 1-line block ×3, first 2 shown]
	v_and_b32_e32 v56, 0xffff0000, v43
	v_lshlrev_b32_e32 v43, 16, v43
	v_add_f32_e32 v54, 0xc3080000, v54
	v_add_f32_e32 v43, 0xc3080000, v43
	v_lshlrev_b32_e32 v5, 16, v5
	v_lshlrev_b32_e32 v4, 16, v4
	v_and_b32_e32 v55, 0xffff0000, v41
	v_lshlrev_b32_e32 v41, 16, v41
	v_cvt_pk_bf16_f32 v54, v54, s0
	v_cvt_pk_bf16_f32 v43, v43, s0
	v_fma_f32 v5, v5, v11, v57
	v_fma_f32 v4, v4, v11, v57
	v_add_f32_e32 v41, 0xc3080000, v41
	v_add_f32_e32 v56, 0xc3080000, v56
	v_cvt_pk_bf16_f32 v59, v5, s0
	v_lshlrev_b32_e32 v5, 16, v54
	v_cvt_pk_bf16_f32 v60, v4, s0
	v_lshlrev_b32_e32 v4, 16, v43
	v_cvt_pk_bf16_f32 v41, v41, s0
	v_cvt_pk_bf16_f32 v56, v56, s0
	v_fma_f32 v5, v5, v11, v57
	v_fma_f32 v4, v4, v11, v57
	v_and_b32_e32 v51, 0xffff0000, v39
	v_lshlrev_b32_e32 v39, 16, v39
	v_add_f32_e32 v55, 0xc3080000, v55
	v_fma_f32 v38, v38, v11, v57
	v_fma_f32 v50, v50, v11, v57
	v_cvt_pk_bf16_f32 v54, v5, s0
	v_lshlrev_b32_e32 v5, 16, v41
	v_cvt_pk_bf16_f32 v43, v4, s0
	v_lshlrev_b32_e32 v4, 16, v56
	v_lshrrev_b32_e32 v44, 4, v6
	v_lshrrev_b32_e32 v45, 8, v6
	;; [unrolled: 1-line block ×3, first 2 shown]
	;;#ASMSTART
	v_and_or_b32 v6, v6, v36, v37
	;;#ASMEND
	v_add_f32_e32 v51, 0xc3080000, v51
	v_add_f32_e32 v39, 0xc3080000, v39
	v_cvt_pk_bf16_f32 v55, v55, s0
	v_cvt_pk_bf16_f32 v38, v38, s0
	;; [unrolled: 1-line block ×3, first 2 shown]
	v_lshlrev_b32_e32 v42, 16, v42
	v_fma_f32 v5, v5, v11, v57
	v_fma_f32 v4, v4, v11, v57
	v_add_f32_e32 v53, 0xc3080000, v53
	v_cvt_pk_bf16_f32 v51, v51, s0
	v_cvt_pk_bf16_f32 v39, v39, s0
	v_add_f32_e32 v42, 0xc3080000, v42
	v_cvt_pk_bf16_f32 v41, v5, s0
	v_lshlrev_b32_e32 v5, 16, v55
	v_cvt_pk_bf16_f32 v56, v4, s0
	v_perm_b32 v4, v50, v38, s2
	v_and_b32_e32 v38, 0xffff0000, v6
	v_lshlrev_b32_e32 v6, 16, v6
	v_cvt_pk_bf16_f32 v53, v53, s0
	v_lshlrev_b32_e32 v39, 16, v39
	v_lshlrev_b32_e32 v51, 16, v51
	v_cvt_pk_bf16_f32 v42, v42, s0
	v_fma_f32 v5, v5, v11, v57
	v_add_f32_e32 v38, 0xc3080000, v38
	v_add_f32_e32 v6, 0xc3080000, v6
	;;#ASMSTART
	v_and_or_b32 v44, v44, v36, v37
	;;#ASMEND
	v_and_b32_e32 v52, 0xffff0000, v40
	v_lshlrev_b32_e32 v40, 16, v40
	v_lshlrev_b32_e32 v53, 16, v53
	v_fma_f32 v39, v39, v11, v57
	v_fma_f32 v51, v51, v11, v57
	v_cvt_pk_bf16_f32 v55, v5, s0
	v_lshlrev_b32_e32 v5, 16, v42
	v_cvt_pk_bf16_f32 v50, v38, s0
	v_cvt_pk_bf16_f32 v6, v6, s0
	v_and_b32_e32 v38, 0xffff0000, v44
	v_add_f32_e32 v52, 0xc3080000, v52
	v_add_f32_e32 v40, 0xc3080000, v40
	v_fma_f32 v53, v53, v11, v57
	v_cvt_pk_bf16_f32 v39, v39, s0
	v_cvt_pk_bf16_f32 v51, v51, s0
	v_fma_f32 v5, v5, v11, v57
	v_add_f32_e32 v38, 0xc3080000, v38
	v_lshlrev_b32_e32 v6, 16, v6
	v_cvt_pk_bf16_f32 v52, v52, s0
	v_cvt_pk_bf16_f32 v40, v40, s0
	;; [unrolled: 1-line block ×4, first 2 shown]
	v_perm_b32 v5, v51, v39, s2
	v_cvt_pk_bf16_f32 v51, v38, s0
	v_lshlrev_b32_e32 v38, 16, v44
	v_fma_f32 v6, v6, v11, v57
	v_lshlrev_b32_e32 v40, 16, v40
	v_lshlrev_b32_e32 v52, 16, v52
	v_add_f32_e32 v38, 0xc3080000, v38
	v_perm_b32 v39, v53, v58, s2
	v_cvt_pk_bf16_f32 v53, v6, s0
	v_lshlrev_b32_e32 v6, 16, v50
	v_fma_f32 v40, v40, v11, v57
	v_fma_f32 v52, v52, v11, v57
	v_cvt_pk_bf16_f32 v44, v38, s0
	v_fma_f32 v6, v6, v11, v57
	;;#ASMSTART
	v_and_or_b32 v45, v45, v36, v37
	;;#ASMEND
	v_cvt_pk_bf16_f32 v40, v40, s0
	v_cvt_pk_bf16_f32 v52, v52, s0
	;; [unrolled: 1-line block ×3, first 2 shown]
	v_lshlrev_b32_e32 v6, 16, v44
	v_perm_b32 v38, v52, v40, s2
	v_and_b32_e32 v40, 0xffff0000, v45
	v_lshlrev_b32_e32 v45, 16, v45
	v_fma_f32 v6, v6, v11, v57
	v_add_f32_e32 v45, 0xc3080000, v45
	v_cvt_pk_bf16_f32 v58, v6, s0
	v_lshlrev_b32_e32 v6, 16, v51
	v_cvt_pk_bf16_f32 v45, v45, s0
	v_fma_f32 v6, v6, v11, v57
	;;#ASMSTART
	v_and_or_b32 v46, v46, v36, v37
	;;#ASMEND
	v_add_f32_e32 v40, 0xc3080000, v40
	v_cvt_pk_bf16_f32 v51, v6, s0
	v_lshlrev_b32_e32 v6, 16, v45
	v_cvt_pk_bf16_f32 v40, v40, s0
	v_and_b32_e32 v52, 0xffff0000, v46
	v_lshlrev_b32_e32 v46, 16, v46
	v_fma_f32 v6, v6, v11, v57
	v_add_f32_e32 v46, 0xc3080000, v46
	v_cvt_pk_bf16_f32 v61, v6, s0
	v_lshlrev_b32_e32 v6, 16, v40
	v_cvt_pk_bf16_f32 v46, v46, s0
	v_fma_f32 v6, v6, v11, v57
	v_add_f32_e32 v52, 0xc3080000, v52
	v_cvt_pk_bf16_f32 v62, v6, s0
	v_lshlrev_b32_e32 v6, 16, v46
	v_cvt_pk_bf16_f32 v52, v52, s0
	v_fma_f32 v6, v6, v11, v57
	v_cvt_pk_bf16_f32 v63, v6, s0
	v_lshlrev_b32_e32 v6, 16, v52
	v_lshrrev_b32_e32 v47, 4, v7
	v_lshrrev_b32_e32 v48, 8, v7
	;; [unrolled: 1-line block ×3, first 2 shown]
	;;#ASMSTART
	v_and_or_b32 v7, v7, v36, v37
	;;#ASMEND
	v_fma_f32 v6, v6, v11, v57
	v_cvt_pk_bf16_f32 v52, v6, s0
	;;#ASMSTART
	v_and_or_b32 v6, v47, v36, v37
	;;#ASMEND
	v_and_b32_e32 v46, 0xffff0000, v7
	v_lshlrev_b32_e32 v7, 16, v7
	v_add_f32_e32 v7, 0xc3080000, v7
	v_and_b32_e32 v47, 0xffff0000, v6
	v_lshlrev_b32_e32 v6, 16, v6
	v_cvt_pk_bf16_f32 v7, v7, s0
	v_add_f32_e32 v6, 0xc3080000, v6
	;;#ASMSTART
	v_and_or_b32 v44, v48, v36, v37
	;;#ASMEND
	v_add_f32_e32 v46, 0xc3080000, v46
	v_cvt_pk_bf16_f32 v6, v6, s0
	v_lshlrev_b32_e32 v7, 16, v7
	v_cvt_pk_bf16_f32 v46, v46, s0
	v_add_f32_e32 v47, 0xc3080000, v47
	v_and_b32_e32 v48, 0xffff0000, v44
	v_lshlrev_b32_e32 v44, 16, v44
	v_fma_f32 v7, v7, v11, v57
	v_lshlrev_b32_e32 v6, 16, v6
	;;#ASMSTART
	v_and_or_b32 v45, v49, v36, v37
	;;#ASMEND
	v_perm_b32 v41, v55, v41, s2
	v_cvt_pk_bf16_f32 v47, v47, s0
	v_add_f32_e32 v44, 0xc3080000, v44
	v_cvt_pk_bf16_f32 v55, v7, s0
	v_lshlrev_b32_e32 v7, 16, v46
	v_fma_f32 v6, v6, v11, v57
	v_perm_b32 v40, v54, v59, s2
	v_add_f32_e32 v48, 0xc3080000, v48
	v_cvt_pk_bf16_f32 v44, v44, s0
	v_and_b32_e32 v49, 0xffff0000, v45
	v_lshlrev_b32_e32 v45, 16, v45
	v_fma_f32 v7, v7, v11, v57
	v_cvt_pk_bf16_f32 v59, v6, s0
	v_lshlrev_b32_e32 v6, 16, v47
	v_perm_b32 v43, v56, v43, s2
	v_cvt_pk_bf16_f32 v48, v48, s0
	v_add_f32_e32 v45, 0xc3080000, v45
	v_cvt_pk_bf16_f32 v56, v7, s0
	v_fma_f32 v46, v6, v11, v57
	v_mfma_f32_16x16x16_bf16 v[4:7], v[16:17], v[4:5], 0
	v_lshlrev_b32_e32 v16, 16, v44
	v_cvt_pk_bf16_f32 v45, v45, s0
	v_fma_f32 v44, v16, v11, v57
	v_mfma_f32_16x16x16_bf16 v[14:17], v[14:15], v[38:39], 0
	v_lshlrev_b32_e32 v38, 16, v48
	v_add_f32_e32 v49, 0xc3080000, v49
	v_cvt_pk_bf16_f32 v64, v44, s0
	v_fma_f32 v44, v38, v11, v57
	v_mfma_f32_16x16x16_bf16 v[38:41], v[12:13], v[40:41], 0
	v_lshlrev_b32_e32 v12, 16, v45
	v_perm_b32 v42, v60, v42, s2
	v_cvt_pk_bf16_f32 v54, v49, s0
	v_fma_f32 v12, v12, v11, v57
	v_cvt_pk_bf16_f32 v65, v44, s0
	v_mfma_f32_16x16x16_bf16 v[42:45], v[18:19], v[42:43], 0
	v_cvt_pk_bf16_f32 v66, v12, s0
	v_perm_b32 v12, v50, v53, s2
	v_perm_b32 v13, v51, v58, s2
	v_lshlrev_b32_e32 v18, 16, v54
	v_cvt_pk_bf16_f32 v60, v46, s0
	v_mfma_f32_16x16x16_bf16 v[46:49], v[24:25], v[12:13], 0
	v_perm_b32 v12, v62, v61, s2
	v_perm_b32 v13, v52, v63, s2
	v_fmac_f32_e32 v57, v18, v11
	v_pk_add_f32 v[2:3], v[2:3], v[6:7]
	v_pk_add_f32 v[0:1], v[0:1], v[4:5]
	v_mfma_f32_16x16x16_bf16 v[22:25], v[22:23], v[12:13], 0
	v_perm_b32 v12, v56, v55, s2
	v_perm_b32 v13, v60, v59, s2
	v_cvt_pk_bf16_f32 v11, v57, s0
	v_pk_add_f32 v[2:3], v[2:3], v[16:17]
	v_pk_add_f32 v[0:1], v[0:1], v[14:15]
	v_mfma_f32_16x16x16_bf16 v[18:21], v[20:21], v[12:13], 0
	v_perm_b32 v12, v65, v64, s2
	v_perm_b32 v13, v11, v66, s2
	v_pk_add_f32 v[2:3], v[2:3], v[40:41]
	v_pk_add_f32 v[0:1], v[0:1], v[38:39]
	v_mfma_f32_16x16x16_bf16 v[50:53], v[26:27], v[12:13], 0
	v_add_f32_e64 v2, v2, v44
	v_add_f32_e64 v3, v3, v45
	v_pk_add_f32 v[0:1], v[0:1], v[42:43]
	v_pk_add_f32 v[2:3], v[2:3], v[48:49]
	;; [unrolled: 1-line block ×7, first 2 shown]
	v_cmp_le_i32_e64 s[0:1], s15, v34
	v_pk_add_f32 v[2:3], v[2:3], v[52:53]
	v_pk_add_f32 v[0:1], v[0:1], v[50:51]
	s_or_b64 s[22:23], s[0:1], s[22:23]
	s_andn2_b64 exec, exec, s[22:23]
	s_cbranch_execz .LBB11_11
.LBB11_3:                               ; =>This Inner Loop Header: Depth=1
	v_ashrrev_i32_e32 v11, 31, v10
	v_lshl_add_u64 v[4:5], v[10:11], 1, v[8:9]
	v_mov_b32_e32 v12, 0
	v_mov_b32_e32 v16, 0
	;; [unrolled: 1-line block ×5, first 2 shown]
	s_and_saveexec_b64 s[0:1], vcc
	s_cbranch_execz .LBB11_5
; %bb.4:                                ;   in Loop: Header=BB11_3 Depth=1
	global_load_dwordx2 v[16:17], v[4:5], off
	global_load_dwordx2 v[14:15], v[4:5], off offset:32
.LBB11_5:                               ;   in Loop: Header=BB11_3 Depth=1
	s_or_b64 exec, exec, s[0:1]
	v_mov_b32_e32 v13, 0
	v_mov_b32_e32 v18, 0
	;; [unrolled: 1-line block ×3, first 2 shown]
	s_and_saveexec_b64 s[0:1], vcc
	s_cbranch_execz .LBB11_7
; %bb.6:                                ;   in Loop: Header=BB11_3 Depth=1
	global_load_dwordx2 v[12:13], v[4:5], off offset:64
	global_load_dwordx2 v[18:19], v[4:5], off offset:96
.LBB11_7:                               ;   in Loop: Header=BB11_3 Depth=1
	s_or_b64 exec, exec, s[0:1]
	v_mov_b32_e32 v20, 0
	v_mov_b32_e32 v24, 0
	v_mov_b32_e32 v25, 0
	v_mov_b32_e32 v22, 0
	v_mov_b32_e32 v23, 0
	s_and_saveexec_b64 s[0:1], vcc
	s_cbranch_execz .LBB11_9
; %bb.8:                                ;   in Loop: Header=BB11_3 Depth=1
	global_load_dwordx2 v[24:25], v[4:5], off offset:128
	global_load_dwordx2 v[22:23], v[4:5], off offset:160
.LBB11_9:                               ;   in Loop: Header=BB11_3 Depth=1
	s_or_b64 exec, exec, s[0:1]
	v_mov_b32_e32 v21, 0
	v_mov_b32_e32 v26, 0
	;; [unrolled: 1-line block ×3, first 2 shown]
	s_and_saveexec_b64 s[0:1], vcc
	s_cbranch_execz .LBB11_2
; %bb.10:                               ;   in Loop: Header=BB11_3 Depth=1
	global_load_dwordx2 v[20:21], v[4:5], off offset:192
	global_load_dwordx2 v[26:27], v[4:5], off offset:224
	s_branch .LBB11_2
.LBB11_11:
	s_or_b64 exec, exec, s[22:23]
.LBB11_12:
	s_or_b64 exec, exec, s[20:21]
	v_add_u32_e32 v22, s15, v33
	v_cmp_gt_u32_e32 vcc, s7, v22
	s_and_saveexec_b64 s[0:1], vcc
	s_cbranch_execz .LBB11_22
; %bb.13:
	v_lshl_or_b32 v8, s4, 4, v31
	v_and_b32_e32 v4, 0xfc, v29
	v_mul_lo_u32 v6, s14, v8
	v_lshl_add_u32 v4, v22, 4, v4
	v_ashrrev_i32_e32 v7, 31, v6
	v_lshl_add_u64 v[6:7], v[6:7], 1, s[16:17]
	v_ashrrev_i32_e32 v5, 31, v4
	v_lshl_add_u64 v[20:21], v[4:5], 1, v[6:7]
	v_cmp_gt_i32_e32 vcc, s12, v8
	v_mov_b32_e32 v4, 0
	v_mov_b32_e32 v8, 0
	;; [unrolled: 1-line block ×5, first 2 shown]
	s_and_saveexec_b64 s[14:15], vcc
	s_cbranch_execz .LBB11_15
; %bb.14:
	global_load_dwordx2 v[8:9], v[20:21], off
	global_load_dwordx2 v[6:7], v[20:21], off offset:32
.LBB11_15:
	s_or_b64 exec, exec, s[14:15]
	v_mov_b32_e32 v5, 0
	v_mov_b32_e32 v10, 0
	;; [unrolled: 1-line block ×3, first 2 shown]
	s_and_saveexec_b64 s[14:15], vcc
	s_cbranch_execz .LBB11_17
; %bb.16:
	global_load_dwordx2 v[4:5], v[20:21], off offset:64
	global_load_dwordx2 v[10:11], v[20:21], off offset:96
.LBB11_17:
	s_or_b64 exec, exec, s[14:15]
	v_mov_b32_e32 v12, 0
	v_mov_b32_e32 v16, 0
	;; [unrolled: 1-line block ×5, first 2 shown]
	s_and_saveexec_b64 s[14:15], vcc
	s_cbranch_execz .LBB11_19
; %bb.18:
	global_load_dwordx2 v[16:17], v[20:21], off offset:128
	global_load_dwordx2 v[14:15], v[20:21], off offset:160
.LBB11_19:
	s_or_b64 exec, exec, s[14:15]
	v_mov_b32_e32 v13, 0
	v_mov_b32_e32 v18, 0
	;; [unrolled: 1-line block ×3, first 2 shown]
	s_and_saveexec_b64 s[14:15], vcc
	s_cbranch_execz .LBB11_21
; %bb.20:
	global_load_dwordx2 v[12:13], v[20:21], off offset:192
	global_load_dwordx2 v[18:19], v[20:21], off offset:224
.LBB11_21:
	s_or_b64 exec, exec, s[14:15]
	v_lshrrev_b32_e32 v20, 3, v22
	v_add_u32_e32 v20, s5, v20
	v_lshl_add_u32 v20, v20, 8, v32
	v_ashrrev_i32_e32 v21, 31, v20
	v_lshl_add_u64 v[20:21], v[20:21], 2, s[18:19]
	global_load_dwordx4 v[24:27], v[20:21], off
	v_ashrrev_i32_e32 v21, 31, v22
	v_lshrrev_b32_e32 v21, 28, v21
	v_add_u32_e32 v21, v22, v21
	v_lshrrev_b32_e32 v21, 4, v21
	v_mul_lo_u32 v21, s6, v21
	v_lshl_or_b32 v20, s3, 4, v31
	v_lshlrev_b32_e32 v21, 4, v21
	v_add_lshl_u32 v20, v20, v21, 1
	v_ashrrev_i32_e32 v21, 31, v20
	v_lshl_add_u64 v[20:21], v[20:21], 1, s[8:9]
	global_load_dword v20, v[20:21], off
	v_mov_b32_e32 v21, 0xf000f
	v_mov_b32_e32 v22, 0x43004300
	s_waitcnt vmcnt(1)
	;;#ASMSTART
	v_and_or_b32 v23, v24, v21, v22
	;;#ASMEND
	s_mov_b32 s2, 0x5040100
	v_and_b32_e32 v36, 0xffff0000, v23
	v_lshlrev_b32_e32 v23, 16, v23
	v_add_f32_e32 v36, 0xc3080000, v36
	v_add_f32_e32 v23, 0xc3080000, v23
	v_cvt_pk_bf16_f32 v36, v36, s0
	v_cvt_pk_bf16_f32 v23, v23, s0
	v_lshlrev_b32_e32 v23, 16, v23
	v_lshrrev_b32_e32 v31, 4, v24
	v_lshrrev_b32_e32 v32, 8, v24
	;; [unrolled: 1-line block ×6, first 2 shown]
	;;#ASMSTART
	v_and_or_b32 v31, v31, v21, v22
	;;#ASMEND
	;;#ASMSTART
	v_and_or_b32 v32, v32, v21, v22
	;;#ASMEND
	;; [unrolled: 3-line block ×8, first 2 shown]
	v_lshrrev_b32_e32 v46, 4, v26
	v_lshrrev_b32_e32 v47, 8, v26
	;; [unrolled: 1-line block ×3, first 2 shown]
	;;#ASMSTART
	v_and_or_b32 v46, v46, v21, v22
	;;#ASMEND
	;;#ASMSTART
	v_and_or_b32 v47, v47, v21, v22
	;;#ASMEND
	;; [unrolled: 3-line block ×3, first 2 shown]
	s_waitcnt vmcnt(0)
	v_and_b32_e32 v42, 0xffff0000, v20
	v_and_b32_e32 v51, 0xffff0000, v26
	v_lshlrev_b32_e32 v26, 16, v26
	v_add_f32_e32 v26, 0xc3080000, v26
	v_cvt_pk_bf16_f32 v26, v26, s0
	v_lshlrev_b32_e32 v43, 16, v20
	v_add_f32_e32 v51, 0xc3080000, v51
	v_lshlrev_b32_e32 v26, 16, v26
	v_cvt_pk_bf16_f32 v51, v51, s0
	v_fma_f32 v26, v26, v43, v42
	v_cvt_pk_bf16_f32 v52, v26, s0
	v_lshlrev_b32_e32 v26, 16, v51
	v_fma_f32 v26, v26, v43, v42
	v_cvt_pk_bf16_f32 v51, v26, s0
	;;#ASMSTART
	v_and_or_b32 v26, v27, v21, v22
	;;#ASMEND
	v_lshrrev_b32_e32 v53, 4, v27
	v_lshrrev_b32_e32 v54, 8, v27
	;;#ASMSTART
	v_and_or_b32 v53, v53, v21, v22
	;;#ASMEND
	;;#ASMSTART
	v_and_or_b32 v54, v54, v21, v22
	;;#ASMEND
	v_lshrrev_b32_e32 v27, 12, v27
	;;#ASMSTART
	v_and_or_b32 v21, v27, v21, v22
	;;#ASMEND
	v_and_b32_e32 v22, 0xffff0000, v26
	v_lshlrev_b32_e32 v26, 16, v26
	v_add_f32_e32 v26, 0xc3080000, v26
	v_and_b32_e32 v56, 0xffff0000, v21
	v_lshlrev_b32_e32 v21, 16, v21
	v_cvt_pk_bf16_f32 v26, v26, s0
	v_add_f32_e32 v21, 0xc3080000, v21
	v_add_f32_e32 v22, 0xc3080000, v22
	v_cvt_pk_bf16_f32 v57, v21, s0
	v_lshlrev_b32_e32 v21, 16, v26
	v_cvt_pk_bf16_f32 v22, v22, s0
	v_and_b32_e32 v27, 0xffff0000, v53
	v_lshlrev_b32_e32 v53, 16, v53
	v_fma_f32 v21, v21, v43, v42
	v_add_f32_e32 v53, 0xc3080000, v53
	v_cvt_pk_bf16_f32 v58, v21, s0
	v_lshlrev_b32_e32 v21, 16, v22
	v_cvt_pk_bf16_f32 v53, v53, s0
	v_fma_f32 v21, v21, v43, v42
	v_add_f32_e32 v27, 0xc3080000, v27
	v_cvt_pk_bf16_f32 v59, v21, s0
	v_lshlrev_b32_e32 v21, 16, v53
	v_and_b32_e32 v37, 0xffff0000, v31
	v_lshlrev_b32_e32 v31, 16, v31
	v_and_b32_e32 v40, 0xffff0000, v25
	v_and_b32_e32 v41, 0xffff0000, v33
	v_cvt_pk_bf16_f32 v27, v27, s0
	v_and_b32_e32 v55, 0xffff0000, v54
	v_lshlrev_b32_e32 v54, 16, v54
	v_fma_f32 v21, v21, v43, v42
	v_and_b32_e32 v38, 0xffff0000, v32
	v_lshlrev_b32_e32 v32, 16, v32
	v_and_b32_e32 v39, 0xffff0000, v24
	v_lshlrev_b32_e32 v24, 16, v24
	v_lshlrev_b32_e32 v25, 16, v25
	v_lshlrev_b32_e32 v33, 16, v33
	v_add_f32_e32 v37, 0xc3080000, v37
	v_add_f32_e32 v31, 0xc3080000, v31
	;; [unrolled: 1-line block ×5, first 2 shown]
	v_cvt_pk_bf16_f32 v53, v21, s0
	v_lshlrev_b32_e32 v21, 16, v27
	v_add_f32_e32 v38, 0xc3080000, v38
	v_add_f32_e32 v32, 0xc3080000, v32
	;; [unrolled: 1-line block ×5, first 2 shown]
	v_cvt_pk_bf16_f32 v37, v37, s0
	v_cvt_pk_bf16_f32 v31, v31, s0
	v_lshlrev_b32_e32 v20, 16, v36
	v_cvt_pk_bf16_f32 v36, v40, s0
	v_cvt_pk_bf16_f32 v40, v41, s0
	v_add_f32_e32 v33, 0xc3080000, v33
	v_and_b32_e32 v41, 0xffff0000, v34
	v_lshlrev_b32_e32 v34, 16, v34
	v_and_b32_e32 v44, 0xffff0000, v35
	v_lshlrev_b32_e32 v35, 16, v35
	v_cvt_pk_bf16_f32 v54, v54, s0
	v_fma_f32 v21, v21, v43, v42
	v_cvt_pk_bf16_f32 v38, v38, s0
	v_cvt_pk_bf16_f32 v32, v32, s0
	;; [unrolled: 1-line block ×5, first 2 shown]
	v_lshlrev_b32_e32 v31, 16, v31
	v_lshlrev_b32_e32 v37, 16, v37
	v_cvt_pk_bf16_f32 v33, v33, s0
	v_add_f32_e32 v41, 0xc3080000, v41
	v_add_f32_e32 v34, 0xc3080000, v34
	;; [unrolled: 1-line block ×4, first 2 shown]
	v_and_b32_e32 v48, 0xffff0000, v45
	v_lshlrev_b32_e32 v45, 16, v45
	v_and_b32_e32 v49, 0xffff0000, v46
	v_lshlrev_b32_e32 v46, 16, v46
	v_add_f32_e32 v55, 0xc3080000, v55
	v_cvt_pk_bf16_f32 v60, v21, s0
	v_lshlrev_b32_e32 v21, 16, v54
	v_fma_f32 v23, v23, v43, v42
	v_fma_f32 v20, v20, v43, v42
	v_lshlrev_b32_e32 v32, 16, v32
	v_lshlrev_b32_e32 v38, 16, v38
	;; [unrolled: 1-line block ×4, first 2 shown]
	v_fma_f32 v31, v31, v43, v42
	v_fma_f32 v37, v37, v43, v42
	v_cvt_pk_bf16_f32 v41, v41, s0
	v_cvt_pk_bf16_f32 v34, v34, s0
	v_cvt_pk_bf16_f32 v44, v44, s0
	v_cvt_pk_bf16_f32 v35, v35, s0
	v_lshlrev_b32_e32 v25, 16, v25
	v_lshlrev_b32_e32 v36, 16, v36
	;; [unrolled: 1-line block ×4, first 2 shown]
	v_add_f32_e32 v48, 0xc3080000, v48
	v_add_f32_e32 v45, 0xc3080000, v45
	;; [unrolled: 1-line block ×4, first 2 shown]
	v_and_b32_e32 v50, 0xffff0000, v47
	v_lshlrev_b32_e32 v47, 16, v47
	v_cvt_pk_bf16_f32 v55, v55, s0
	v_fma_f32 v21, v21, v43, v42
	v_cvt_pk_bf16_f32 v23, v23, s0
	v_cvt_pk_bf16_f32 v20, v20, s0
	v_fma_f32 v32, v32, v43, v42
	v_fma_f32 v38, v38, v43, v42
	;; [unrolled: 1-line block ×4, first 2 shown]
	v_cvt_pk_bf16_f32 v31, v31, s0
	v_cvt_pk_bf16_f32 v37, v37, s0
	v_fma_f32 v25, v25, v43, v42
	v_fma_f32 v36, v36, v43, v42
	;; [unrolled: 1-line block ×4, first 2 shown]
	v_lshlrev_b32_e32 v34, 16, v34
	v_lshlrev_b32_e32 v41, 16, v41
	;; [unrolled: 1-line block ×4, first 2 shown]
	v_cvt_pk_bf16_f32 v48, v48, s0
	v_cvt_pk_bf16_f32 v45, v45, s0
	;; [unrolled: 1-line block ×4, first 2 shown]
	v_add_f32_e32 v50, 0xc3080000, v50
	v_add_f32_e32 v47, 0xc3080000, v47
	v_cvt_pk_bf16_f32 v54, v21, s0
	v_lshlrev_b32_e32 v21, 16, v55
	v_cvt_pk_bf16_f32 v32, v32, s0
	v_cvt_pk_bf16_f32 v38, v38, s0
	;; [unrolled: 1-line block ×8, first 2 shown]
	v_fma_f32 v34, v34, v43, v42
	v_fma_f32 v41, v41, v43, v42
	;; [unrolled: 1-line block ×4, first 2 shown]
	v_cvt_pk_bf16_f32 v50, v50, s0
	v_cvt_pk_bf16_f32 v47, v47, s0
	v_lshlrev_b32_e32 v45, 16, v45
	v_lshlrev_b32_e32 v48, 16, v48
	;; [unrolled: 1-line block ×4, first 2 shown]
	v_fma_f32 v26, v21, v43, v42
	v_perm_b32 v20, v20, v23, s2
	v_perm_b32 v21, v37, v31, s2
	v_cvt_pk_bf16_f32 v34, v34, s0
	v_cvt_pk_bf16_f32 v41, v41, s0
	;; [unrolled: 1-line block ×4, first 2 shown]
	v_fma_f32 v45, v45, v43, v42
	v_fma_f32 v48, v48, v43, v42
	;; [unrolled: 1-line block ×4, first 2 shown]
	v_lshlrev_b32_e32 v47, 16, v47
	v_lshlrev_b32_e32 v50, 16, v50
	v_mfma_f32_16x16x16_bf16 v[20:23], v[8:9], v[20:21], 0
	v_perm_b32 v8, v38, v32, s2
	v_perm_b32 v9, v39, v24, s2
	v_perm_b32 v24, v36, v25, s2
	v_perm_b32 v25, v40, v33, s2
	v_cvt_pk_bf16_f32 v45, v45, s0
	v_cvt_pk_bf16_f32 v48, v48, s0
	v_cvt_pk_bf16_f32 v46, v46, s0
	v_cvt_pk_bf16_f32 v49, v49, s0
	v_fma_f32 v47, v47, v43, v42
	v_fma_f32 v50, v50, v43, v42
	v_add_f32_e32 v56, 0xc3080000, v56
	v_cvt_pk_bf16_f32 v31, v26, s0
	v_mfma_f32_16x16x16_bf16 v[6:9], v[6:7], v[8:9], 0
	v_lshlrev_b32_e32 v32, 16, v57
	v_cvt_pk_bf16_f32 v47, v47, s0
	v_cvt_pk_bf16_f32 v50, v50, s0
	v_mfma_f32_16x16x16_bf16 v[24:27], v[4:5], v[24:25], 0
	v_perm_b32 v4, v41, v34, s2
	v_perm_b32 v5, v44, v35, s2
	v_cvt_pk_bf16_f32 v56, v56, s0
	v_fma_f32 v36, v32, v43, v42
	v_mfma_f32_16x16x16_bf16 v[32:35], v[10:11], v[4:5], 0
	v_perm_b32 v4, v48, v45, s2
	v_perm_b32 v5, v49, v46, s2
	v_cvt_pk_bf16_f32 v40, v36, s0
	v_lshlrev_b32_e32 v10, 16, v56
	v_mfma_f32_16x16x16_bf16 v[36:39], v[16:17], v[4:5], 0
	v_perm_b32 v4, v50, v47, s2
	v_perm_b32 v5, v51, v52, s2
	v_fmac_f32_e32 v42, v10, v43
	v_pk_add_f32 v[2:3], v[2:3], v[22:23]
	v_mfma_f32_16x16x16_bf16 v[14:17], v[14:15], v[4:5], 0
	v_perm_b32 v4, v59, v58, s2
	v_perm_b32 v5, v60, v53, s2
	v_pk_add_f32 v[0:1], v[0:1], v[20:21]
	v_pk_add_f32 v[2:3], v[2:3], v[8:9]
	v_mfma_f32_16x16x16_bf16 v[10:13], v[12:13], v[4:5], 0
	v_cvt_pk_bf16_f32 v5, v42, s0
	v_pk_add_f32 v[0:1], v[0:1], v[6:7]
	v_perm_b32 v4, v31, v54, s2
	v_perm_b32 v5, v5, v40, s2
	v_pk_add_f32 v[2:3], v[2:3], v[26:27]
	v_pk_add_f32 v[0:1], v[0:1], v[24:25]
	v_mfma_f32_16x16x16_bf16 v[40:43], v[18:19], v[4:5], 0
	v_add_f32_e64 v2, v2, v34
	v_add_f32_e64 v3, v3, v35
	v_pk_add_f32 v[0:1], v[0:1], v[32:33]
	v_pk_add_f32 v[2:3], v[2:3], v[38:39]
	;; [unrolled: 1-line block ×9, first 2 shown]
.LBB11_22:
	s_or_b64 exec, exec, s[0:1]
	v_lshlrev_b32_e32 v27, 4, v28
	v_lshl_add_u32 v4, v30, 10, v27
	v_cmp_eq_u32_e32 vcc, 0, v30
	ds_write_b128 v4, v[0:3]
	s_waitcnt lgkmcnt(0)
	s_barrier
	s_and_saveexec_b64 s[0:1], vcc
	s_cbranch_execz .LBB11_31
; %bb.23:
	v_add_u32_e32 v6, 12, v27
	v_add_u32_e32 v4, 0x404, v27
	;; [unrolled: 1-line block ×7, first 2 shown]
	ds_read2st64_b32 v[0:1], v6 offset1:4
	ds_read2st64_b32 v[2:3], v6 offset0:8 offset1:12
	ds_read2_b32 v[10:11], v27 offset0:1 offset1:2
	ds_read2_b32 v[12:13], v4 offset1:1
	ds_read2_b32 v[14:15], v5 offset1:1
	;; [unrolled: 1-line block ×3, first 2 shown]
	ds_read2st64_b32 v[4:5], v6 offset0:16 offset1:20
	v_add_u32_e32 v9, 0x1404, v27
	ds_read2st64_b32 v[6:7], v6 offset0:24 offset1:28
	ds_read2_b32 v[18:19], v8 offset1:1
	ds_read2_b32 v[20:21], v9 offset1:1
	;; [unrolled: 1-line block ×4, first 2 shown]
	v_and_b32_e32 v8, 0xfc, v29
	v_lshl_add_u32 v26, s4, 4, v8
	s_lshl_b32 s0, s3, 4
	v_and_or_b32 v8, v28, 15, s0
	v_mul_lo_u32 v28, s13, v26
	v_ashrrev_i32_e32 v29, 31, v28
	v_lshl_add_u64 v[28:29], v[28:29], 1, s[10:11]
	v_ashrrev_i32_e32 v9, 31, v8
	v_lshl_add_u64 v[8:9], v[8:9], 1, v[28:29]
	v_cmp_gt_i32_e32 vcc, s12, v26
	s_and_saveexec_b64 s[0:1], vcc
	s_cbranch_execz .LBB11_25
; %bb.24:
	ds_read2st64_b32 v[28:29], v27 offset1:4
	ds_read2st64_b32 v[30:31], v27 offset0:8 offset1:12
	ds_read2st64_b32 v[32:33], v27 offset0:16 offset1:20
	s_waitcnt lgkmcnt(2)
	v_add_f32_e32 v28, 0, v28
	v_add_f32_e32 v34, v28, v29
	ds_read2st64_b32 v[28:29], v27 offset0:24 offset1:28
	s_waitcnt lgkmcnt(2)
	v_add_f32_e32 v27, v34, v30
	v_add_f32_e32 v27, v27, v31
	s_waitcnt lgkmcnt(1)
	v_add_f32_e32 v27, v27, v32
	v_add_f32_e32 v27, v27, v33
	s_waitcnt lgkmcnt(0)
	v_add_f32_e32 v27, v27, v28
	v_add_f32_e32 v27, v27, v29
	v_cvt_pk_bf16_f32 v27, v27, s0
	global_store_short v[8:9], v27, off
.LBB11_25:
	s_or_b64 exec, exec, s[0:1]
	v_or_b32_e32 v27, 1, v26
	v_cmp_gt_i32_e32 vcc, s12, v27
	s_and_saveexec_b64 s[0:1], vcc
	s_cbranch_execz .LBB11_27
; %bb.26:
	s_waitcnt lgkmcnt(9)
	v_add_f32_e32 v10, 0, v10
	s_waitcnt lgkmcnt(8)
	v_add_f32_e32 v10, v10, v12
	;; [unrolled: 2-line block ×8, first 2 shown]
	s_ashr_i32 s3, s13, 31
	s_mov_b32 s2, s13
	v_cvt_pk_bf16_f32 v10, v10, s0
	v_lshl_add_u64 v[28:29], s[2:3], 1, v[8:9]
	global_store_short v[28:29], v10, off
.LBB11_27:
	s_or_b64 exec, exec, s[0:1]
	s_waitcnt lgkmcnt(9)
	v_or_b32_e32 v10, 2, v26
	v_cmp_gt_i32_e32 vcc, s12, v10
	s_and_saveexec_b64 s[0:1], vcc
	s_cbranch_execz .LBB11_29
; %bb.28:
	v_add_f32_e32 v10, 0, v11
	s_waitcnt lgkmcnt(8)
	v_add_f32_e32 v10, v10, v13
	s_waitcnt lgkmcnt(7)
	;; [unrolled: 2-line block ×6, first 2 shown]
	v_add_f32_e32 v10, v10, v23
	s_lshl_b32 s2, s13, 1
	s_waitcnt lgkmcnt(0)
	v_add_f32_e32 v10, v10, v25
	s_ashr_i32 s3, s2, 31
	v_cvt_pk_bf16_f32 v12, v10, s0
	v_lshl_add_u64 v[10:11], s[2:3], 1, v[8:9]
	global_store_short v[10:11], v12, off
.LBB11_29:
	s_or_b64 exec, exec, s[0:1]
	v_or_b32_e32 v10, 3, v26
	v_cmp_gt_i32_e32 vcc, s12, v10
	s_and_b64 exec, exec, vcc
	s_cbranch_execz .LBB11_31
; %bb.30:
	v_add_f32_e32 v0, 0, v0
	v_add_f32_e32 v0, v0, v1
	v_add_f32_e32 v0, v0, v2
	v_add_f32_e32 v0, v0, v3
	s_waitcnt lgkmcnt(5)
	v_add_f32_e32 v0, v0, v4
	v_add_f32_e32 v0, v0, v5
	s_waitcnt lgkmcnt(4)
	v_add_f32_e32 v0, v0, v6
	v_add_f32_e32 v0, v0, v7
	v_cvt_pk_bf16_f32 v2, v0, s0
	s_mul_i32 s0, s13, 3
	s_ashr_i32 s1, s0, 31
	v_lshl_add_u64 v[0:1], s[0:1], 1, v[8:9]
	global_store_short v[0:1], v2, off
.LBB11_31:
	s_endpgm
	.section	.rodata,"a",@progbits
	.p2align	6, 0x0
	.amdhsa_kernel _ZN2at6native30tinygemm_m16n8k16_chunk_kernelINS0_10ALayout_RMILNS0_14KReductionTypeE0EEENS0_15BLayout_TC_int4ILi8ELi256EEES4_Li8ELi8EEEvPKvS8_S8_Pviiiiii
		.amdhsa_group_segment_fixed_size 8192
		.amdhsa_private_segment_fixed_size 0
		.amdhsa_kernarg_size 56
		.amdhsa_user_sgpr_count 2
		.amdhsa_user_sgpr_dispatch_ptr 0
		.amdhsa_user_sgpr_queue_ptr 0
		.amdhsa_user_sgpr_kernarg_segment_ptr 1
		.amdhsa_user_sgpr_dispatch_id 0
		.amdhsa_user_sgpr_kernarg_preload_length 0
		.amdhsa_user_sgpr_kernarg_preload_offset 0
		.amdhsa_user_sgpr_private_segment_size 0
		.amdhsa_uses_dynamic_stack 0
		.amdhsa_enable_private_segment 0
		.amdhsa_system_sgpr_workgroup_id_x 1
		.amdhsa_system_sgpr_workgroup_id_y 1
		.amdhsa_system_sgpr_workgroup_id_z 1
		.amdhsa_system_sgpr_workgroup_info 0
		.amdhsa_system_vgpr_workitem_id 1
		.amdhsa_next_free_vgpr 67
		.amdhsa_next_free_sgpr 25
		.amdhsa_accum_offset 68
		.amdhsa_reserve_vcc 1
		.amdhsa_float_round_mode_32 0
		.amdhsa_float_round_mode_16_64 0
		.amdhsa_float_denorm_mode_32 3
		.amdhsa_float_denorm_mode_16_64 3
		.amdhsa_dx10_clamp 1
		.amdhsa_ieee_mode 1
		.amdhsa_fp16_overflow 0
		.amdhsa_tg_split 0
		.amdhsa_exception_fp_ieee_invalid_op 0
		.amdhsa_exception_fp_denorm_src 0
		.amdhsa_exception_fp_ieee_div_zero 0
		.amdhsa_exception_fp_ieee_overflow 0
		.amdhsa_exception_fp_ieee_underflow 0
		.amdhsa_exception_fp_ieee_inexact 0
		.amdhsa_exception_int_div_zero 0
	.end_amdhsa_kernel
	.section	.text._ZN2at6native30tinygemm_m16n8k16_chunk_kernelINS0_10ALayout_RMILNS0_14KReductionTypeE0EEENS0_15BLayout_TC_int4ILi8ELi256EEES4_Li8ELi8EEEvPKvS8_S8_Pviiiiii,"axG",@progbits,_ZN2at6native30tinygemm_m16n8k16_chunk_kernelINS0_10ALayout_RMILNS0_14KReductionTypeE0EEENS0_15BLayout_TC_int4ILi8ELi256EEES4_Li8ELi8EEEvPKvS8_S8_Pviiiiii,comdat
.Lfunc_end11:
	.size	_ZN2at6native30tinygemm_m16n8k16_chunk_kernelINS0_10ALayout_RMILNS0_14KReductionTypeE0EEENS0_15BLayout_TC_int4ILi8ELi256EEES4_Li8ELi8EEEvPKvS8_S8_Pviiiiii, .Lfunc_end11-_ZN2at6native30tinygemm_m16n8k16_chunk_kernelINS0_10ALayout_RMILNS0_14KReductionTypeE0EEENS0_15BLayout_TC_int4ILi8ELi256EEES4_Li8ELi8EEEvPKvS8_S8_Pviiiiii
                                        ; -- End function
	.set _ZN2at6native30tinygemm_m16n8k16_chunk_kernelINS0_10ALayout_RMILNS0_14KReductionTypeE0EEENS0_15BLayout_TC_int4ILi8ELi256EEES4_Li8ELi8EEEvPKvS8_S8_Pviiiiii.num_vgpr, 67
	.set _ZN2at6native30tinygemm_m16n8k16_chunk_kernelINS0_10ALayout_RMILNS0_14KReductionTypeE0EEENS0_15BLayout_TC_int4ILi8ELi256EEES4_Li8ELi8EEEvPKvS8_S8_Pviiiiii.num_agpr, 0
	.set _ZN2at6native30tinygemm_m16n8k16_chunk_kernelINS0_10ALayout_RMILNS0_14KReductionTypeE0EEENS0_15BLayout_TC_int4ILi8ELi256EEES4_Li8ELi8EEEvPKvS8_S8_Pviiiiii.numbered_sgpr, 25
	.set _ZN2at6native30tinygemm_m16n8k16_chunk_kernelINS0_10ALayout_RMILNS0_14KReductionTypeE0EEENS0_15BLayout_TC_int4ILi8ELi256EEES4_Li8ELi8EEEvPKvS8_S8_Pviiiiii.num_named_barrier, 0
	.set _ZN2at6native30tinygemm_m16n8k16_chunk_kernelINS0_10ALayout_RMILNS0_14KReductionTypeE0EEENS0_15BLayout_TC_int4ILi8ELi256EEES4_Li8ELi8EEEvPKvS8_S8_Pviiiiii.private_seg_size, 0
	.set _ZN2at6native30tinygemm_m16n8k16_chunk_kernelINS0_10ALayout_RMILNS0_14KReductionTypeE0EEENS0_15BLayout_TC_int4ILi8ELi256EEES4_Li8ELi8EEEvPKvS8_S8_Pviiiiii.uses_vcc, 1
	.set _ZN2at6native30tinygemm_m16n8k16_chunk_kernelINS0_10ALayout_RMILNS0_14KReductionTypeE0EEENS0_15BLayout_TC_int4ILi8ELi256EEES4_Li8ELi8EEEvPKvS8_S8_Pviiiiii.uses_flat_scratch, 0
	.set _ZN2at6native30tinygemm_m16n8k16_chunk_kernelINS0_10ALayout_RMILNS0_14KReductionTypeE0EEENS0_15BLayout_TC_int4ILi8ELi256EEES4_Li8ELi8EEEvPKvS8_S8_Pviiiiii.has_dyn_sized_stack, 0
	.set _ZN2at6native30tinygemm_m16n8k16_chunk_kernelINS0_10ALayout_RMILNS0_14KReductionTypeE0EEENS0_15BLayout_TC_int4ILi8ELi256EEES4_Li8ELi8EEEvPKvS8_S8_Pviiiiii.has_recursion, 0
	.set _ZN2at6native30tinygemm_m16n8k16_chunk_kernelINS0_10ALayout_RMILNS0_14KReductionTypeE0EEENS0_15BLayout_TC_int4ILi8ELi256EEES4_Li8ELi8EEEvPKvS8_S8_Pviiiiii.has_indirect_call, 0
	.section	.AMDGPU.csdata,"",@progbits
; Kernel info:
; codeLenInByte = 5608
; TotalNumSgprs: 31
; NumVgprs: 67
; NumAgprs: 0
; TotalNumVgprs: 67
; ScratchSize: 0
; MemoryBound: 0
; FloatMode: 240
; IeeeMode: 1
; LDSByteSize: 8192 bytes/workgroup (compile time only)
; SGPRBlocks: 3
; VGPRBlocks: 8
; NumSGPRsForWavesPerEU: 31
; NumVGPRsForWavesPerEU: 67
; AccumOffset: 68
; Occupancy: 7
; WaveLimiterHint : 0
; COMPUTE_PGM_RSRC2:SCRATCH_EN: 0
; COMPUTE_PGM_RSRC2:USER_SGPR: 2
; COMPUTE_PGM_RSRC2:TRAP_HANDLER: 0
; COMPUTE_PGM_RSRC2:TGID_X_EN: 1
; COMPUTE_PGM_RSRC2:TGID_Y_EN: 1
; COMPUTE_PGM_RSRC2:TGID_Z_EN: 1
; COMPUTE_PGM_RSRC2:TIDIG_COMP_CNT: 1
; COMPUTE_PGM_RSRC3_GFX90A:ACCUM_OFFSET: 16
; COMPUTE_PGM_RSRC3_GFX90A:TG_SPLIT: 0
	.section	.text._ZN2at6native31matrix_to_m16n8k16_Bint4_layoutILi2EEEvN5torch10headeronly6detail27GenericPackedTensorAccessorINS4_14TensorAccessorIN3c108ArrayRefIlEEhLm1ENS3_17RestrictPtrTraitsEiEENS_6detail16IndexBoundsCheckILm2EiEEhLm2ESA_iEENS5_INS6_IS9_iLm3ESA_iEENSD_ILm4EiEEiLm4ESA_iEE,"axG",@progbits,_ZN2at6native31matrix_to_m16n8k16_Bint4_layoutILi2EEEvN5torch10headeronly6detail27GenericPackedTensorAccessorINS4_14TensorAccessorIN3c108ArrayRefIlEEhLm1ENS3_17RestrictPtrTraitsEiEENS_6detail16IndexBoundsCheckILm2EiEEhLm2ESA_iEENS5_INS6_IS9_iLm3ESA_iEENSD_ILm4EiEEiLm4ESA_iEE,comdat
	.protected	_ZN2at6native31matrix_to_m16n8k16_Bint4_layoutILi2EEEvN5torch10headeronly6detail27GenericPackedTensorAccessorINS4_14TensorAccessorIN3c108ArrayRefIlEEhLm1ENS3_17RestrictPtrTraitsEiEENS_6detail16IndexBoundsCheckILm2EiEEhLm2ESA_iEENS5_INS6_IS9_iLm3ESA_iEENSD_ILm4EiEEiLm4ESA_iEE ; -- Begin function _ZN2at6native31matrix_to_m16n8k16_Bint4_layoutILi2EEEvN5torch10headeronly6detail27GenericPackedTensorAccessorINS4_14TensorAccessorIN3c108ArrayRefIlEEhLm1ENS3_17RestrictPtrTraitsEiEENS_6detail16IndexBoundsCheckILm2EiEEhLm2ESA_iEENS5_INS6_IS9_iLm3ESA_iEENSD_ILm4EiEEiLm4ESA_iEE
	.globl	_ZN2at6native31matrix_to_m16n8k16_Bint4_layoutILi2EEEvN5torch10headeronly6detail27GenericPackedTensorAccessorINS4_14TensorAccessorIN3c108ArrayRefIlEEhLm1ENS3_17RestrictPtrTraitsEiEENS_6detail16IndexBoundsCheckILm2EiEEhLm2ESA_iEENS5_INS6_IS9_iLm3ESA_iEENSD_ILm4EiEEiLm4ESA_iEE
	.p2align	8
	.type	_ZN2at6native31matrix_to_m16n8k16_Bint4_layoutILi2EEEvN5torch10headeronly6detail27GenericPackedTensorAccessorINS4_14TensorAccessorIN3c108ArrayRefIlEEhLm1ENS3_17RestrictPtrTraitsEiEENS_6detail16IndexBoundsCheckILm2EiEEhLm2ESA_iEENS5_INS6_IS9_iLm3ESA_iEENSD_ILm4EiEEiLm4ESA_iEE,@function
_ZN2at6native31matrix_to_m16n8k16_Bint4_layoutILi2EEEvN5torch10headeronly6detail27GenericPackedTensorAccessorINS4_14TensorAccessorIN3c108ArrayRefIlEEhLm1ENS3_17RestrictPtrTraitsEiEENS_6detail16IndexBoundsCheckILm2EiEEhLm2ESA_iEENS5_INS6_IS9_iLm3ESA_iEENSD_ILm4EiEEiLm4ESA_iEE: ; @_ZN2at6native31matrix_to_m16n8k16_Bint4_layoutILi2EEEvN5torch10headeronly6detail27GenericPackedTensorAccessorINS4_14TensorAccessorIN3c108ArrayRefIlEEhLm1ENS3_17RestrictPtrTraitsEiEENS_6detail16IndexBoundsCheckILm2EiEEhLm2ESA_iEENS5_INS6_IS9_iLm3ESA_iEENSD_ILm4EiEEiLm4ESA_iEE
; %bb.0:
	s_load_dwordx4 s[8:11], s[0:1], 0x8
	s_load_dwordx2 s[4:5], s[0:1], 0x0
	v_and_b32_e32 v1, 15, v0
	s_lshl_b32 s6, s2, 4
	v_lshrrev_b32_e32 v2, 3, v0
	v_lshl_or_b32 v1, s3, 4, v1
	s_and_b32 s6, s6, 0x7ffffff0
	v_and_b32_e32 v2, 0x7e, v2
	v_add_u32_e32 v4, s6, v2
	s_waitcnt lgkmcnt(0)
	v_mul_lo_u32 v2, s10, v1
	v_ashrrev_i32_e32 v3, 31, v2
	v_cmp_gt_u32_e32 vcc, s8, v1
	v_lshl_add_u64 v[2:3], s[4:5], 0, v[2:3]
	v_cmp_gt_i32_e64 s[4:5], s9, v4
	s_and_b64 s[6:7], vcc, s[4:5]
	v_mov_b32_e32 v1, 0
	v_ashrrev_i32_e32 v5, 31, v4
	v_mov_b32_e32 v6, 0
	s_and_saveexec_b64 s[4:5], s[6:7]
	s_cbranch_execz .LBB12_2
; %bb.1:
	v_lshl_add_u64 v[6:7], v[2:3], 0, v[4:5]
	global_load_ubyte v6, v[6:7], off
.LBB12_2:
	s_or_b64 exec, exec, s[4:5]
	v_or_b32_e32 v7, 1, v4
	v_cmp_gt_i32_e64 s[4:5], s9, v7
	s_and_b64 s[6:7], vcc, s[4:5]
	s_and_saveexec_b64 s[4:5], s[6:7]
	s_cbranch_execz .LBB12_4
; %bb.3:
	v_lshl_add_u64 v[8:9], v[2:3], 0, v[4:5]
	global_load_ubyte v1, v[8:9], off offset:1
.LBB12_4:
	s_or_b64 exec, exec, s[4:5]
	s_load_dwordx2 s[6:7], s[0:1], 0x18
	v_add_u32_e32 v4, 8, v4
	v_cmp_gt_i32_e64 s[4:5], s9, v4
	s_and_b64 s[10:11], vcc, s[4:5]
	v_mov_b32_e32 v8, 0
	v_ashrrev_i32_e32 v5, 31, v4
	v_mov_b32_e32 v7, 0
	s_and_saveexec_b64 s[4:5], s[10:11]
	s_cbranch_execz .LBB12_6
; %bb.5:
	v_lshl_add_u64 v[10:11], v[2:3], 0, v[4:5]
	global_load_ubyte v7, v[10:11], off
.LBB12_6:
	s_or_b64 exec, exec, s[4:5]
	s_load_dword s4, s[0:1], 0x24
	v_or_b32_e32 v9, 1, v4
	v_cmp_gt_i32_e64 s[0:1], s9, v9
	s_and_b64 s[8:9], vcc, s[0:1]
	s_and_saveexec_b64 s[0:1], s[8:9]
	s_cbranch_execz .LBB12_8
; %bb.7:
	v_lshl_add_u64 v[2:3], v[2:3], 0, v[4:5]
	global_load_ubyte v8, v[2:3], off offset:1
.LBB12_8:
	s_or_b64 exec, exec, s[0:1]
	s_waitcnt lgkmcnt(0)
	s_mul_i32 s0, s4, s3
	s_add_i32 s0, s0, s2
	v_lshl_add_u32 v2, s0, 6, v0
	s_waitcnt vmcnt(0)
	v_lshlrev_b32_e32 v0, 28, v8
	v_lshlrev_b32_e32 v4, 24, v7
	s_mov_b32 s0, 0xf000000
	v_and_or_b32 v0, v4, s0, v0
	v_lshlrev_b32_e32 v4, 20, v1
	v_lshlrev_b32_e32 v5, 16, v6
	v_and_b32_e32 v4, 0xf00000, v4
	v_and_b32_e32 v5, 0xf0000, v5
	v_or3_b32 v0, v0, v4, v5
	v_lshlrev_b32_e32 v4, 8, v8
	v_lshlrev_b32_e32 v5, 4, v7
	v_and_b32_e32 v4, 0xf000, v4
	v_and_b32_e32 v5, 0xf00, v5
	v_mov_b32_e32 v3, 0
	v_or3_b32 v0, v0, v4, v5
	v_and_b32_e32 v1, 0xf0, v1
	v_lshrrev_b32_e32 v4, 4, v6
	v_lshl_add_u64 v[2:3], v[2:3], 2, s[6:7]
	v_or3_b32 v0, v0, v1, v4
	global_store_dword v[2:3], v0, off
	s_endpgm
	.section	.rodata,"a",@progbits
	.p2align	6, 0x0
	.amdhsa_kernel _ZN2at6native31matrix_to_m16n8k16_Bint4_layoutILi2EEEvN5torch10headeronly6detail27GenericPackedTensorAccessorINS4_14TensorAccessorIN3c108ArrayRefIlEEhLm1ENS3_17RestrictPtrTraitsEiEENS_6detail16IndexBoundsCheckILm2EiEEhLm2ESA_iEENS5_INS6_IS9_iLm3ESA_iEENSD_ILm4EiEEiLm4ESA_iEE
		.amdhsa_group_segment_fixed_size 0
		.amdhsa_private_segment_fixed_size 0
		.amdhsa_kernarg_size 64
		.amdhsa_user_sgpr_count 2
		.amdhsa_user_sgpr_dispatch_ptr 0
		.amdhsa_user_sgpr_queue_ptr 0
		.amdhsa_user_sgpr_kernarg_segment_ptr 1
		.amdhsa_user_sgpr_dispatch_id 0
		.amdhsa_user_sgpr_kernarg_preload_length 0
		.amdhsa_user_sgpr_kernarg_preload_offset 0
		.amdhsa_user_sgpr_private_segment_size 0
		.amdhsa_uses_dynamic_stack 0
		.amdhsa_enable_private_segment 0
		.amdhsa_system_sgpr_workgroup_id_x 1
		.amdhsa_system_sgpr_workgroup_id_y 1
		.amdhsa_system_sgpr_workgroup_id_z 0
		.amdhsa_system_sgpr_workgroup_info 0
		.amdhsa_system_vgpr_workitem_id 0
		.amdhsa_next_free_vgpr 12
		.amdhsa_next_free_sgpr 12
		.amdhsa_accum_offset 12
		.amdhsa_reserve_vcc 1
		.amdhsa_float_round_mode_32 0
		.amdhsa_float_round_mode_16_64 0
		.amdhsa_float_denorm_mode_32 3
		.amdhsa_float_denorm_mode_16_64 3
		.amdhsa_dx10_clamp 1
		.amdhsa_ieee_mode 1
		.amdhsa_fp16_overflow 0
		.amdhsa_tg_split 0
		.amdhsa_exception_fp_ieee_invalid_op 0
		.amdhsa_exception_fp_denorm_src 0
		.amdhsa_exception_fp_ieee_div_zero 0
		.amdhsa_exception_fp_ieee_overflow 0
		.amdhsa_exception_fp_ieee_underflow 0
		.amdhsa_exception_fp_ieee_inexact 0
		.amdhsa_exception_int_div_zero 0
	.end_amdhsa_kernel
	.section	.text._ZN2at6native31matrix_to_m16n8k16_Bint4_layoutILi2EEEvN5torch10headeronly6detail27GenericPackedTensorAccessorINS4_14TensorAccessorIN3c108ArrayRefIlEEhLm1ENS3_17RestrictPtrTraitsEiEENS_6detail16IndexBoundsCheckILm2EiEEhLm2ESA_iEENS5_INS6_IS9_iLm3ESA_iEENSD_ILm4EiEEiLm4ESA_iEE,"axG",@progbits,_ZN2at6native31matrix_to_m16n8k16_Bint4_layoutILi2EEEvN5torch10headeronly6detail27GenericPackedTensorAccessorINS4_14TensorAccessorIN3c108ArrayRefIlEEhLm1ENS3_17RestrictPtrTraitsEiEENS_6detail16IndexBoundsCheckILm2EiEEhLm2ESA_iEENS5_INS6_IS9_iLm3ESA_iEENSD_ILm4EiEEiLm4ESA_iEE,comdat
.Lfunc_end12:
	.size	_ZN2at6native31matrix_to_m16n8k16_Bint4_layoutILi2EEEvN5torch10headeronly6detail27GenericPackedTensorAccessorINS4_14TensorAccessorIN3c108ArrayRefIlEEhLm1ENS3_17RestrictPtrTraitsEiEENS_6detail16IndexBoundsCheckILm2EiEEhLm2ESA_iEENS5_INS6_IS9_iLm3ESA_iEENSD_ILm4EiEEiLm4ESA_iEE, .Lfunc_end12-_ZN2at6native31matrix_to_m16n8k16_Bint4_layoutILi2EEEvN5torch10headeronly6detail27GenericPackedTensorAccessorINS4_14TensorAccessorIN3c108ArrayRefIlEEhLm1ENS3_17RestrictPtrTraitsEiEENS_6detail16IndexBoundsCheckILm2EiEEhLm2ESA_iEENS5_INS6_IS9_iLm3ESA_iEENSD_ILm4EiEEiLm4ESA_iEE
                                        ; -- End function
	.set _ZN2at6native31matrix_to_m16n8k16_Bint4_layoutILi2EEEvN5torch10headeronly6detail27GenericPackedTensorAccessorINS4_14TensorAccessorIN3c108ArrayRefIlEEhLm1ENS3_17RestrictPtrTraitsEiEENS_6detail16IndexBoundsCheckILm2EiEEhLm2ESA_iEENS5_INS6_IS9_iLm3ESA_iEENSD_ILm4EiEEiLm4ESA_iEE.num_vgpr, 12
	.set _ZN2at6native31matrix_to_m16n8k16_Bint4_layoutILi2EEEvN5torch10headeronly6detail27GenericPackedTensorAccessorINS4_14TensorAccessorIN3c108ArrayRefIlEEhLm1ENS3_17RestrictPtrTraitsEiEENS_6detail16IndexBoundsCheckILm2EiEEhLm2ESA_iEENS5_INS6_IS9_iLm3ESA_iEENSD_ILm4EiEEiLm4ESA_iEE.num_agpr, 0
	.set _ZN2at6native31matrix_to_m16n8k16_Bint4_layoutILi2EEEvN5torch10headeronly6detail27GenericPackedTensorAccessorINS4_14TensorAccessorIN3c108ArrayRefIlEEhLm1ENS3_17RestrictPtrTraitsEiEENS_6detail16IndexBoundsCheckILm2EiEEhLm2ESA_iEENS5_INS6_IS9_iLm3ESA_iEENSD_ILm4EiEEiLm4ESA_iEE.numbered_sgpr, 12
	.set _ZN2at6native31matrix_to_m16n8k16_Bint4_layoutILi2EEEvN5torch10headeronly6detail27GenericPackedTensorAccessorINS4_14TensorAccessorIN3c108ArrayRefIlEEhLm1ENS3_17RestrictPtrTraitsEiEENS_6detail16IndexBoundsCheckILm2EiEEhLm2ESA_iEENS5_INS6_IS9_iLm3ESA_iEENSD_ILm4EiEEiLm4ESA_iEE.num_named_barrier, 0
	.set _ZN2at6native31matrix_to_m16n8k16_Bint4_layoutILi2EEEvN5torch10headeronly6detail27GenericPackedTensorAccessorINS4_14TensorAccessorIN3c108ArrayRefIlEEhLm1ENS3_17RestrictPtrTraitsEiEENS_6detail16IndexBoundsCheckILm2EiEEhLm2ESA_iEENS5_INS6_IS9_iLm3ESA_iEENSD_ILm4EiEEiLm4ESA_iEE.private_seg_size, 0
	.set _ZN2at6native31matrix_to_m16n8k16_Bint4_layoutILi2EEEvN5torch10headeronly6detail27GenericPackedTensorAccessorINS4_14TensorAccessorIN3c108ArrayRefIlEEhLm1ENS3_17RestrictPtrTraitsEiEENS_6detail16IndexBoundsCheckILm2EiEEhLm2ESA_iEENS5_INS6_IS9_iLm3ESA_iEENSD_ILm4EiEEiLm4ESA_iEE.uses_vcc, 1
	.set _ZN2at6native31matrix_to_m16n8k16_Bint4_layoutILi2EEEvN5torch10headeronly6detail27GenericPackedTensorAccessorINS4_14TensorAccessorIN3c108ArrayRefIlEEhLm1ENS3_17RestrictPtrTraitsEiEENS_6detail16IndexBoundsCheckILm2EiEEhLm2ESA_iEENS5_INS6_IS9_iLm3ESA_iEENSD_ILm4EiEEiLm4ESA_iEE.uses_flat_scratch, 0
	.set _ZN2at6native31matrix_to_m16n8k16_Bint4_layoutILi2EEEvN5torch10headeronly6detail27GenericPackedTensorAccessorINS4_14TensorAccessorIN3c108ArrayRefIlEEhLm1ENS3_17RestrictPtrTraitsEiEENS_6detail16IndexBoundsCheckILm2EiEEhLm2ESA_iEENS5_INS6_IS9_iLm3ESA_iEENSD_ILm4EiEEiLm4ESA_iEE.has_dyn_sized_stack, 0
	.set _ZN2at6native31matrix_to_m16n8k16_Bint4_layoutILi2EEEvN5torch10headeronly6detail27GenericPackedTensorAccessorINS4_14TensorAccessorIN3c108ArrayRefIlEEhLm1ENS3_17RestrictPtrTraitsEiEENS_6detail16IndexBoundsCheckILm2EiEEhLm2ESA_iEENS5_INS6_IS9_iLm3ESA_iEENSD_ILm4EiEEiLm4ESA_iEE.has_recursion, 0
	.set _ZN2at6native31matrix_to_m16n8k16_Bint4_layoutILi2EEEvN5torch10headeronly6detail27GenericPackedTensorAccessorINS4_14TensorAccessorIN3c108ArrayRefIlEEhLm1ENS3_17RestrictPtrTraitsEiEENS_6detail16IndexBoundsCheckILm2EiEEhLm2ESA_iEENS5_INS6_IS9_iLm3ESA_iEENSD_ILm4EiEEiLm4ESA_iEE.has_indirect_call, 0
	.section	.AMDGPU.csdata,"",@progbits
; Kernel info:
; codeLenInByte = 452
; TotalNumSgprs: 18
; NumVgprs: 12
; NumAgprs: 0
; TotalNumVgprs: 12
; ScratchSize: 0
; MemoryBound: 0
; FloatMode: 240
; IeeeMode: 1
; LDSByteSize: 0 bytes/workgroup (compile time only)
; SGPRBlocks: 2
; VGPRBlocks: 1
; NumSGPRsForWavesPerEU: 18
; NumVGPRsForWavesPerEU: 12
; AccumOffset: 12
; Occupancy: 8
; WaveLimiterHint : 0
; COMPUTE_PGM_RSRC2:SCRATCH_EN: 0
; COMPUTE_PGM_RSRC2:USER_SGPR: 2
; COMPUTE_PGM_RSRC2:TRAP_HANDLER: 0
; COMPUTE_PGM_RSRC2:TGID_X_EN: 1
; COMPUTE_PGM_RSRC2:TGID_Y_EN: 1
; COMPUTE_PGM_RSRC2:TGID_Z_EN: 0
; COMPUTE_PGM_RSRC2:TIDIG_COMP_CNT: 0
; COMPUTE_PGM_RSRC3_GFX90A:ACCUM_OFFSET: 2
; COMPUTE_PGM_RSRC3_GFX90A:TG_SPLIT: 0
	.section	.text._ZN2at6native31matrix_to_m16n8k16_Bint4_layoutILi4EEEvN5torch10headeronly6detail27GenericPackedTensorAccessorINS4_14TensorAccessorIN3c108ArrayRefIlEEhLm1ENS3_17RestrictPtrTraitsEiEENS_6detail16IndexBoundsCheckILm2EiEEhLm2ESA_iEENS5_INS6_IS9_iLm3ESA_iEENSD_ILm4EiEEiLm4ESA_iEE,"axG",@progbits,_ZN2at6native31matrix_to_m16n8k16_Bint4_layoutILi4EEEvN5torch10headeronly6detail27GenericPackedTensorAccessorINS4_14TensorAccessorIN3c108ArrayRefIlEEhLm1ENS3_17RestrictPtrTraitsEiEENS_6detail16IndexBoundsCheckILm2EiEEhLm2ESA_iEENS5_INS6_IS9_iLm3ESA_iEENSD_ILm4EiEEiLm4ESA_iEE,comdat
	.protected	_ZN2at6native31matrix_to_m16n8k16_Bint4_layoutILi4EEEvN5torch10headeronly6detail27GenericPackedTensorAccessorINS4_14TensorAccessorIN3c108ArrayRefIlEEhLm1ENS3_17RestrictPtrTraitsEiEENS_6detail16IndexBoundsCheckILm2EiEEhLm2ESA_iEENS5_INS6_IS9_iLm3ESA_iEENSD_ILm4EiEEiLm4ESA_iEE ; -- Begin function _ZN2at6native31matrix_to_m16n8k16_Bint4_layoutILi4EEEvN5torch10headeronly6detail27GenericPackedTensorAccessorINS4_14TensorAccessorIN3c108ArrayRefIlEEhLm1ENS3_17RestrictPtrTraitsEiEENS_6detail16IndexBoundsCheckILm2EiEEhLm2ESA_iEENS5_INS6_IS9_iLm3ESA_iEENSD_ILm4EiEEiLm4ESA_iEE
	.globl	_ZN2at6native31matrix_to_m16n8k16_Bint4_layoutILi4EEEvN5torch10headeronly6detail27GenericPackedTensorAccessorINS4_14TensorAccessorIN3c108ArrayRefIlEEhLm1ENS3_17RestrictPtrTraitsEiEENS_6detail16IndexBoundsCheckILm2EiEEhLm2ESA_iEENS5_INS6_IS9_iLm3ESA_iEENSD_ILm4EiEEiLm4ESA_iEE
	.p2align	8
	.type	_ZN2at6native31matrix_to_m16n8k16_Bint4_layoutILi4EEEvN5torch10headeronly6detail27GenericPackedTensorAccessorINS4_14TensorAccessorIN3c108ArrayRefIlEEhLm1ENS3_17RestrictPtrTraitsEiEENS_6detail16IndexBoundsCheckILm2EiEEhLm2ESA_iEENS5_INS6_IS9_iLm3ESA_iEENSD_ILm4EiEEiLm4ESA_iEE,@function
_ZN2at6native31matrix_to_m16n8k16_Bint4_layoutILi4EEEvN5torch10headeronly6detail27GenericPackedTensorAccessorINS4_14TensorAccessorIN3c108ArrayRefIlEEhLm1ENS3_17RestrictPtrTraitsEiEENS_6detail16IndexBoundsCheckILm2EiEEhLm2ESA_iEENS5_INS6_IS9_iLm3ESA_iEENSD_ILm4EiEEiLm4ESA_iEE: ; @_ZN2at6native31matrix_to_m16n8k16_Bint4_layoutILi4EEEvN5torch10headeronly6detail27GenericPackedTensorAccessorINS4_14TensorAccessorIN3c108ArrayRefIlEEhLm1ENS3_17RestrictPtrTraitsEiEENS_6detail16IndexBoundsCheckILm2EiEEhLm2ESA_iEENS5_INS6_IS9_iLm3ESA_iEENSD_ILm4EiEEiLm4ESA_iEE
; %bb.0:
	s_load_dwordx4 s[8:11], s[0:1], 0x8
	s_load_dwordx2 s[4:5], s[0:1], 0x0
	v_and_b32_e32 v1, 15, v0
	v_lshl_or_b32 v1, s3, 4, v1
	v_lshrrev_b32_e32 v2, 3, v0
	v_and_b32_e32 v4, 0x7e, v2
	s_waitcnt lgkmcnt(0)
	v_mul_lo_u32 v2, s10, v1
	v_ashrrev_i32_e32 v3, 31, v2
	v_lshl_add_u64 v[2:3], s[4:5], 0, v[2:3]
	s_lshl_b32 s4, s2, 5
	s_and_b32 s4, s4, 0x7fffffe0
	v_add_u32_e32 v4, s4, v4
	v_cmp_gt_u32_e32 vcc, s8, v1
	v_cmp_gt_i32_e64 s[4:5], s9, v4
	s_and_b64 s[6:7], vcc, s[4:5]
	v_mov_b32_e32 v1, 0
	v_ashrrev_i32_e32 v5, 31, v4
	v_mov_b32_e32 v8, 0
	s_and_saveexec_b64 s[4:5], s[6:7]
	s_cbranch_execz .LBB13_2
; %bb.1:
	v_lshl_add_u64 v[6:7], v[2:3], 0, v[4:5]
	global_load_ubyte v8, v[6:7], off
.LBB13_2:
	s_or_b64 exec, exec, s[4:5]
	v_or_b32_e32 v6, 1, v4
	v_cmp_gt_i32_e64 s[4:5], s9, v6
	s_and_b64 s[6:7], vcc, s[4:5]
	s_and_saveexec_b64 s[4:5], s[6:7]
	s_cbranch_execz .LBB13_4
; %bb.3:
	v_lshl_add_u64 v[6:7], v[2:3], 0, v[4:5]
	global_load_ubyte v1, v[6:7], off offset:1
.LBB13_4:
	s_or_b64 exec, exec, s[4:5]
	s_load_dwordx2 s[6:7], s[0:1], 0x18
	v_add_u32_e32 v6, 8, v4
	v_cmp_gt_i32_e64 s[4:5], s9, v6
	s_and_b64 s[10:11], vcc, s[4:5]
	v_mov_b32_e32 v9, 0
	v_ashrrev_i32_e32 v7, 31, v6
	v_mov_b32_e32 v5, 0
	s_and_saveexec_b64 s[4:5], s[10:11]
	s_cbranch_execz .LBB13_6
; %bb.5:
	v_lshl_add_u64 v[10:11], v[2:3], 0, v[6:7]
	global_load_ubyte v5, v[10:11], off
.LBB13_6:
	s_or_b64 exec, exec, s[4:5]
	s_load_dword s4, s[0:1], 0x24
	v_or_b32_e32 v10, 1, v6
	v_cmp_gt_i32_e64 s[0:1], s9, v10
	s_and_b64 s[10:11], vcc, s[0:1]
	s_and_saveexec_b64 s[0:1], s[10:11]
	s_cbranch_execz .LBB13_8
; %bb.7:
	v_lshl_add_u64 v[6:7], v[2:3], 0, v[6:7]
	global_load_ubyte v9, v[6:7], off offset:1
.LBB13_8:
	s_or_b64 exec, exec, s[0:1]
	s_waitcnt lgkmcnt(0)
	s_mul_i32 s0, s4, s3
	s_add_i32 s0, s0, s2
	v_lshlrev_b32_e32 v0, 1, v0
	v_lshl_add_u32 v0, s0, 7, v0
	s_waitcnt vmcnt(0)
	v_lshlrev_b32_e32 v6, 28, v9
	v_lshlrev_b32_e32 v7, 24, v5
	s_mov_b32 s0, 0xf000000
	v_and_or_b32 v6, v7, s0, v6
	v_lshlrev_b32_e32 v7, 20, v1
	v_lshlrev_b32_e32 v10, 16, v8
	v_and_b32_e32 v7, 0xf00000, v7
	v_and_b32_e32 v10, 0xf0000, v10
	v_or3_b32 v6, v6, v7, v10
	v_lshlrev_b32_e32 v7, 8, v9
	v_lshlrev_b32_e32 v5, 4, v5
	v_and_b32_e32 v7, 0xf000, v7
	v_and_b32_e32 v5, 0xf00, v5
	v_or3_b32 v5, v6, v7, v5
	v_and_b32_e32 v1, 0xf0, v1
	v_lshrrev_b32_e32 v6, 4, v8
	v_add_u32_e32 v8, 16, v4
	v_or3_b32 v5, v5, v1, v6
	v_mov_b32_e32 v1, 0
	v_cmp_gt_i32_e64 s[0:1], s9, v8
	v_lshl_add_u64 v[6:7], v[0:1], 2, s[6:7]
	s_and_b64 s[2:3], vcc, s[0:1]
	v_ashrrev_i32_e32 v9, 31, v8
	v_mov_b32_e32 v0, 0
	global_store_dword v[6:7], v5, off
	s_and_saveexec_b64 s[0:1], s[2:3]
	s_cbranch_execz .LBB13_10
; %bb.9:
	v_lshl_add_u64 v[10:11], v[2:3], 0, v[8:9]
	global_load_ubyte v0, v[10:11], off
.LBB13_10:
	s_or_b64 exec, exec, s[0:1]
	v_or_b32_e32 v5, 1, v8
	v_cmp_gt_i32_e64 s[0:1], s9, v5
	s_and_b64 s[2:3], vcc, s[0:1]
	s_and_saveexec_b64 s[0:1], s[2:3]
	s_cbranch_execz .LBB13_12
; %bb.11:
	v_lshl_add_u64 v[8:9], v[2:3], 0, v[8:9]
	global_load_ubyte v1, v[8:9], off offset:1
.LBB13_12:
	s_or_b64 exec, exec, s[0:1]
	v_add_u32_e32 v4, 24, v4
	v_cmp_gt_i32_e64 s[0:1], s9, v4
	s_and_b64 s[2:3], vcc, s[0:1]
	v_mov_b32_e32 v9, 0
	v_ashrrev_i32_e32 v5, 31, v4
	v_mov_b32_e32 v8, 0
	s_and_saveexec_b64 s[0:1], s[2:3]
	s_cbranch_execz .LBB13_14
; %bb.13:
	v_lshl_add_u64 v[10:11], v[2:3], 0, v[4:5]
	global_load_ubyte v8, v[10:11], off
.LBB13_14:
	s_or_b64 exec, exec, s[0:1]
	v_or_b32_e32 v10, 1, v4
	v_cmp_gt_i32_e64 s[0:1], s9, v10
	s_and_b64 s[2:3], vcc, s[0:1]
	s_and_saveexec_b64 s[0:1], s[2:3]
	s_cbranch_execz .LBB13_16
; %bb.15:
	v_lshl_add_u64 v[2:3], v[2:3], 0, v[4:5]
	global_load_ubyte v9, v[2:3], off offset:1
.LBB13_16:
	s_or_b64 exec, exec, s[0:1]
	s_waitcnt vmcnt(0)
	v_lshlrev_b32_e32 v2, 28, v9
	v_lshlrev_b32_e32 v3, 24, v8
	s_mov_b32 s0, 0xf000000
	v_and_or_b32 v2, v3, s0, v2
	v_lshlrev_b32_e32 v3, 20, v1
	v_lshlrev_b32_e32 v4, 16, v0
	v_and_b32_e32 v3, 0xf00000, v3
	v_and_b32_e32 v4, 0xf0000, v4
	v_or3_b32 v2, v2, v3, v4
	v_lshlrev_b32_e32 v3, 8, v9
	v_lshlrev_b32_e32 v4, 4, v8
	v_and_b32_e32 v3, 0xf000, v3
	v_and_b32_e32 v4, 0xf00, v4
	v_or3_b32 v2, v2, v3, v4
	v_and_b32_e32 v1, 0xf0, v1
	v_lshrrev_b32_e32 v0, 4, v0
	v_or3_b32 v0, v2, v1, v0
	global_store_dword v[6:7], v0, off offset:4
	s_endpgm
	.section	.rodata,"a",@progbits
	.p2align	6, 0x0
	.amdhsa_kernel _ZN2at6native31matrix_to_m16n8k16_Bint4_layoutILi4EEEvN5torch10headeronly6detail27GenericPackedTensorAccessorINS4_14TensorAccessorIN3c108ArrayRefIlEEhLm1ENS3_17RestrictPtrTraitsEiEENS_6detail16IndexBoundsCheckILm2EiEEhLm2ESA_iEENS5_INS6_IS9_iLm3ESA_iEENSD_ILm4EiEEiLm4ESA_iEE
		.amdhsa_group_segment_fixed_size 0
		.amdhsa_private_segment_fixed_size 0
		.amdhsa_kernarg_size 64
		.amdhsa_user_sgpr_count 2
		.amdhsa_user_sgpr_dispatch_ptr 0
		.amdhsa_user_sgpr_queue_ptr 0
		.amdhsa_user_sgpr_kernarg_segment_ptr 1
		.amdhsa_user_sgpr_dispatch_id 0
		.amdhsa_user_sgpr_kernarg_preload_length 0
		.amdhsa_user_sgpr_kernarg_preload_offset 0
		.amdhsa_user_sgpr_private_segment_size 0
		.amdhsa_uses_dynamic_stack 0
		.amdhsa_enable_private_segment 0
		.amdhsa_system_sgpr_workgroup_id_x 1
		.amdhsa_system_sgpr_workgroup_id_y 1
		.amdhsa_system_sgpr_workgroup_id_z 0
		.amdhsa_system_sgpr_workgroup_info 0
		.amdhsa_system_vgpr_workitem_id 0
		.amdhsa_next_free_vgpr 12
		.amdhsa_next_free_sgpr 12
		.amdhsa_accum_offset 12
		.amdhsa_reserve_vcc 1
		.amdhsa_float_round_mode_32 0
		.amdhsa_float_round_mode_16_64 0
		.amdhsa_float_denorm_mode_32 3
		.amdhsa_float_denorm_mode_16_64 3
		.amdhsa_dx10_clamp 1
		.amdhsa_ieee_mode 1
		.amdhsa_fp16_overflow 0
		.amdhsa_tg_split 0
		.amdhsa_exception_fp_ieee_invalid_op 0
		.amdhsa_exception_fp_denorm_src 0
		.amdhsa_exception_fp_ieee_div_zero 0
		.amdhsa_exception_fp_ieee_overflow 0
		.amdhsa_exception_fp_ieee_underflow 0
		.amdhsa_exception_fp_ieee_inexact 0
		.amdhsa_exception_int_div_zero 0
	.end_amdhsa_kernel
	.section	.text._ZN2at6native31matrix_to_m16n8k16_Bint4_layoutILi4EEEvN5torch10headeronly6detail27GenericPackedTensorAccessorINS4_14TensorAccessorIN3c108ArrayRefIlEEhLm1ENS3_17RestrictPtrTraitsEiEENS_6detail16IndexBoundsCheckILm2EiEEhLm2ESA_iEENS5_INS6_IS9_iLm3ESA_iEENSD_ILm4EiEEiLm4ESA_iEE,"axG",@progbits,_ZN2at6native31matrix_to_m16n8k16_Bint4_layoutILi4EEEvN5torch10headeronly6detail27GenericPackedTensorAccessorINS4_14TensorAccessorIN3c108ArrayRefIlEEhLm1ENS3_17RestrictPtrTraitsEiEENS_6detail16IndexBoundsCheckILm2EiEEhLm2ESA_iEENS5_INS6_IS9_iLm3ESA_iEENSD_ILm4EiEEiLm4ESA_iEE,comdat
.Lfunc_end13:
	.size	_ZN2at6native31matrix_to_m16n8k16_Bint4_layoutILi4EEEvN5torch10headeronly6detail27GenericPackedTensorAccessorINS4_14TensorAccessorIN3c108ArrayRefIlEEhLm1ENS3_17RestrictPtrTraitsEiEENS_6detail16IndexBoundsCheckILm2EiEEhLm2ESA_iEENS5_INS6_IS9_iLm3ESA_iEENSD_ILm4EiEEiLm4ESA_iEE, .Lfunc_end13-_ZN2at6native31matrix_to_m16n8k16_Bint4_layoutILi4EEEvN5torch10headeronly6detail27GenericPackedTensorAccessorINS4_14TensorAccessorIN3c108ArrayRefIlEEhLm1ENS3_17RestrictPtrTraitsEiEENS_6detail16IndexBoundsCheckILm2EiEEhLm2ESA_iEENS5_INS6_IS9_iLm3ESA_iEENSD_ILm4EiEEiLm4ESA_iEE
                                        ; -- End function
	.set _ZN2at6native31matrix_to_m16n8k16_Bint4_layoutILi4EEEvN5torch10headeronly6detail27GenericPackedTensorAccessorINS4_14TensorAccessorIN3c108ArrayRefIlEEhLm1ENS3_17RestrictPtrTraitsEiEENS_6detail16IndexBoundsCheckILm2EiEEhLm2ESA_iEENS5_INS6_IS9_iLm3ESA_iEENSD_ILm4EiEEiLm4ESA_iEE.num_vgpr, 12
	.set _ZN2at6native31matrix_to_m16n8k16_Bint4_layoutILi4EEEvN5torch10headeronly6detail27GenericPackedTensorAccessorINS4_14TensorAccessorIN3c108ArrayRefIlEEhLm1ENS3_17RestrictPtrTraitsEiEENS_6detail16IndexBoundsCheckILm2EiEEhLm2ESA_iEENS5_INS6_IS9_iLm3ESA_iEENSD_ILm4EiEEiLm4ESA_iEE.num_agpr, 0
	.set _ZN2at6native31matrix_to_m16n8k16_Bint4_layoutILi4EEEvN5torch10headeronly6detail27GenericPackedTensorAccessorINS4_14TensorAccessorIN3c108ArrayRefIlEEhLm1ENS3_17RestrictPtrTraitsEiEENS_6detail16IndexBoundsCheckILm2EiEEhLm2ESA_iEENS5_INS6_IS9_iLm3ESA_iEENSD_ILm4EiEEiLm4ESA_iEE.numbered_sgpr, 12
	.set _ZN2at6native31matrix_to_m16n8k16_Bint4_layoutILi4EEEvN5torch10headeronly6detail27GenericPackedTensorAccessorINS4_14TensorAccessorIN3c108ArrayRefIlEEhLm1ENS3_17RestrictPtrTraitsEiEENS_6detail16IndexBoundsCheckILm2EiEEhLm2ESA_iEENS5_INS6_IS9_iLm3ESA_iEENSD_ILm4EiEEiLm4ESA_iEE.num_named_barrier, 0
	.set _ZN2at6native31matrix_to_m16n8k16_Bint4_layoutILi4EEEvN5torch10headeronly6detail27GenericPackedTensorAccessorINS4_14TensorAccessorIN3c108ArrayRefIlEEhLm1ENS3_17RestrictPtrTraitsEiEENS_6detail16IndexBoundsCheckILm2EiEEhLm2ESA_iEENS5_INS6_IS9_iLm3ESA_iEENSD_ILm4EiEEiLm4ESA_iEE.private_seg_size, 0
	.set _ZN2at6native31matrix_to_m16n8k16_Bint4_layoutILi4EEEvN5torch10headeronly6detail27GenericPackedTensorAccessorINS4_14TensorAccessorIN3c108ArrayRefIlEEhLm1ENS3_17RestrictPtrTraitsEiEENS_6detail16IndexBoundsCheckILm2EiEEhLm2ESA_iEENS5_INS6_IS9_iLm3ESA_iEENSD_ILm4EiEEiLm4ESA_iEE.uses_vcc, 1
	.set _ZN2at6native31matrix_to_m16n8k16_Bint4_layoutILi4EEEvN5torch10headeronly6detail27GenericPackedTensorAccessorINS4_14TensorAccessorIN3c108ArrayRefIlEEhLm1ENS3_17RestrictPtrTraitsEiEENS_6detail16IndexBoundsCheckILm2EiEEhLm2ESA_iEENS5_INS6_IS9_iLm3ESA_iEENSD_ILm4EiEEiLm4ESA_iEE.uses_flat_scratch, 0
	.set _ZN2at6native31matrix_to_m16n8k16_Bint4_layoutILi4EEEvN5torch10headeronly6detail27GenericPackedTensorAccessorINS4_14TensorAccessorIN3c108ArrayRefIlEEhLm1ENS3_17RestrictPtrTraitsEiEENS_6detail16IndexBoundsCheckILm2EiEEhLm2ESA_iEENS5_INS6_IS9_iLm3ESA_iEENSD_ILm4EiEEiLm4ESA_iEE.has_dyn_sized_stack, 0
	.set _ZN2at6native31matrix_to_m16n8k16_Bint4_layoutILi4EEEvN5torch10headeronly6detail27GenericPackedTensorAccessorINS4_14TensorAccessorIN3c108ArrayRefIlEEhLm1ENS3_17RestrictPtrTraitsEiEENS_6detail16IndexBoundsCheckILm2EiEEhLm2ESA_iEENS5_INS6_IS9_iLm3ESA_iEENSD_ILm4EiEEiLm4ESA_iEE.has_recursion, 0
	.set _ZN2at6native31matrix_to_m16n8k16_Bint4_layoutILi4EEEvN5torch10headeronly6detail27GenericPackedTensorAccessorINS4_14TensorAccessorIN3c108ArrayRefIlEEhLm1ENS3_17RestrictPtrTraitsEiEENS_6detail16IndexBoundsCheckILm2EiEEhLm2ESA_iEENS5_INS6_IS9_iLm3ESA_iEENSD_ILm4EiEEiLm4ESA_iEE.has_indirect_call, 0
	.section	.AMDGPU.csdata,"",@progbits
; Kernel info:
; codeLenInByte = 772
; TotalNumSgprs: 18
; NumVgprs: 12
; NumAgprs: 0
; TotalNumVgprs: 12
; ScratchSize: 0
; MemoryBound: 0
; FloatMode: 240
; IeeeMode: 1
; LDSByteSize: 0 bytes/workgroup (compile time only)
; SGPRBlocks: 2
; VGPRBlocks: 1
; NumSGPRsForWavesPerEU: 18
; NumVGPRsForWavesPerEU: 12
; AccumOffset: 12
; Occupancy: 8
; WaveLimiterHint : 0
; COMPUTE_PGM_RSRC2:SCRATCH_EN: 0
; COMPUTE_PGM_RSRC2:USER_SGPR: 2
; COMPUTE_PGM_RSRC2:TRAP_HANDLER: 0
; COMPUTE_PGM_RSRC2:TGID_X_EN: 1
; COMPUTE_PGM_RSRC2:TGID_Y_EN: 1
; COMPUTE_PGM_RSRC2:TGID_Z_EN: 0
; COMPUTE_PGM_RSRC2:TIDIG_COMP_CNT: 0
; COMPUTE_PGM_RSRC3_GFX90A:ACCUM_OFFSET: 2
; COMPUTE_PGM_RSRC3_GFX90A:TG_SPLIT: 0
	.section	.text._ZN2at6native31matrix_to_m16n8k16_Bint4_layoutILi8EEEvN5torch10headeronly6detail27GenericPackedTensorAccessorINS4_14TensorAccessorIN3c108ArrayRefIlEEhLm1ENS3_17RestrictPtrTraitsEiEENS_6detail16IndexBoundsCheckILm2EiEEhLm2ESA_iEENS5_INS6_IS9_iLm3ESA_iEENSD_ILm4EiEEiLm4ESA_iEE,"axG",@progbits,_ZN2at6native31matrix_to_m16n8k16_Bint4_layoutILi8EEEvN5torch10headeronly6detail27GenericPackedTensorAccessorINS4_14TensorAccessorIN3c108ArrayRefIlEEhLm1ENS3_17RestrictPtrTraitsEiEENS_6detail16IndexBoundsCheckILm2EiEEhLm2ESA_iEENS5_INS6_IS9_iLm3ESA_iEENSD_ILm4EiEEiLm4ESA_iEE,comdat
	.protected	_ZN2at6native31matrix_to_m16n8k16_Bint4_layoutILi8EEEvN5torch10headeronly6detail27GenericPackedTensorAccessorINS4_14TensorAccessorIN3c108ArrayRefIlEEhLm1ENS3_17RestrictPtrTraitsEiEENS_6detail16IndexBoundsCheckILm2EiEEhLm2ESA_iEENS5_INS6_IS9_iLm3ESA_iEENSD_ILm4EiEEiLm4ESA_iEE ; -- Begin function _ZN2at6native31matrix_to_m16n8k16_Bint4_layoutILi8EEEvN5torch10headeronly6detail27GenericPackedTensorAccessorINS4_14TensorAccessorIN3c108ArrayRefIlEEhLm1ENS3_17RestrictPtrTraitsEiEENS_6detail16IndexBoundsCheckILm2EiEEhLm2ESA_iEENS5_INS6_IS9_iLm3ESA_iEENSD_ILm4EiEEiLm4ESA_iEE
	.globl	_ZN2at6native31matrix_to_m16n8k16_Bint4_layoutILi8EEEvN5torch10headeronly6detail27GenericPackedTensorAccessorINS4_14TensorAccessorIN3c108ArrayRefIlEEhLm1ENS3_17RestrictPtrTraitsEiEENS_6detail16IndexBoundsCheckILm2EiEEhLm2ESA_iEENS5_INS6_IS9_iLm3ESA_iEENSD_ILm4EiEEiLm4ESA_iEE
	.p2align	8
	.type	_ZN2at6native31matrix_to_m16n8k16_Bint4_layoutILi8EEEvN5torch10headeronly6detail27GenericPackedTensorAccessorINS4_14TensorAccessorIN3c108ArrayRefIlEEhLm1ENS3_17RestrictPtrTraitsEiEENS_6detail16IndexBoundsCheckILm2EiEEhLm2ESA_iEENS5_INS6_IS9_iLm3ESA_iEENSD_ILm4EiEEiLm4ESA_iEE,@function
_ZN2at6native31matrix_to_m16n8k16_Bint4_layoutILi8EEEvN5torch10headeronly6detail27GenericPackedTensorAccessorINS4_14TensorAccessorIN3c108ArrayRefIlEEhLm1ENS3_17RestrictPtrTraitsEiEENS_6detail16IndexBoundsCheckILm2EiEEhLm2ESA_iEENS5_INS6_IS9_iLm3ESA_iEENSD_ILm4EiEEiLm4ESA_iEE: ; @_ZN2at6native31matrix_to_m16n8k16_Bint4_layoutILi8EEEvN5torch10headeronly6detail27GenericPackedTensorAccessorINS4_14TensorAccessorIN3c108ArrayRefIlEEhLm1ENS3_17RestrictPtrTraitsEiEENS_6detail16IndexBoundsCheckILm2EiEEhLm2ESA_iEENS5_INS6_IS9_iLm3ESA_iEENSD_ILm4EiEEiLm4ESA_iEE
; %bb.0:
	s_load_dwordx4 s[8:11], s[0:1], 0x8
	s_load_dwordx2 s[4:5], s[0:1], 0x0
	v_and_b32_e32 v1, 15, v0
	v_lshl_or_b32 v1, s3, 4, v1
	v_lshrrev_b32_e32 v2, 3, v0
	v_and_b32_e32 v4, 0x7e, v2
	s_waitcnt lgkmcnt(0)
	v_mul_lo_u32 v2, s10, v1
	v_ashrrev_i32_e32 v3, 31, v2
	v_lshl_add_u64 v[2:3], s[4:5], 0, v[2:3]
	s_lshl_b32 s4, s2, 6
	s_and_b32 s4, s4, 0x7fffffc0
	v_add_u32_e32 v4, s4, v4
	v_cmp_gt_u32_e32 vcc, s8, v1
	v_cmp_gt_i32_e64 s[4:5], s9, v4
	s_and_b64 s[6:7], vcc, s[4:5]
	v_mov_b32_e32 v1, 0
	v_ashrrev_i32_e32 v5, 31, v4
	v_mov_b32_e32 v8, 0
	s_and_saveexec_b64 s[4:5], s[6:7]
	s_cbranch_execz .LBB14_2
; %bb.1:
	v_lshl_add_u64 v[6:7], v[2:3], 0, v[4:5]
	global_load_ubyte v8, v[6:7], off
.LBB14_2:
	s_or_b64 exec, exec, s[4:5]
	v_or_b32_e32 v6, 1, v4
	v_cmp_gt_i32_e64 s[4:5], s9, v6
	s_and_b64 s[6:7], vcc, s[4:5]
	s_and_saveexec_b64 s[4:5], s[6:7]
	s_cbranch_execz .LBB14_4
; %bb.3:
	v_lshl_add_u64 v[6:7], v[2:3], 0, v[4:5]
	global_load_ubyte v1, v[6:7], off offset:1
.LBB14_4:
	s_or_b64 exec, exec, s[4:5]
	s_load_dwordx2 s[6:7], s[0:1], 0x18
	v_add_u32_e32 v6, 8, v4
	v_cmp_gt_i32_e64 s[4:5], s9, v6
	s_and_b64 s[10:11], vcc, s[4:5]
	v_mov_b32_e32 v9, 0
	v_ashrrev_i32_e32 v7, 31, v6
	v_mov_b32_e32 v5, 0
	s_and_saveexec_b64 s[4:5], s[10:11]
	s_cbranch_execz .LBB14_6
; %bb.5:
	v_lshl_add_u64 v[10:11], v[2:3], 0, v[6:7]
	global_load_ubyte v5, v[10:11], off
.LBB14_6:
	s_or_b64 exec, exec, s[4:5]
	s_load_dword s4, s[0:1], 0x24
	v_or_b32_e32 v10, 1, v6
	v_cmp_gt_i32_e64 s[0:1], s9, v10
	s_and_b64 s[10:11], vcc, s[0:1]
	s_and_saveexec_b64 s[0:1], s[10:11]
	s_cbranch_execz .LBB14_8
; %bb.7:
	v_lshl_add_u64 v[6:7], v[2:3], 0, v[6:7]
	global_load_ubyte v9, v[6:7], off offset:1
.LBB14_8:
	s_or_b64 exec, exec, s[0:1]
	s_waitcnt lgkmcnt(0)
	s_mul_i32 s0, s4, s3
	s_add_i32 s0, s0, s2
	v_lshlrev_b32_e32 v0, 2, v0
	v_lshl_add_u32 v6, s0, 8, v0
	s_waitcnt vmcnt(0)
	v_lshlrev_b32_e32 v0, 28, v9
	v_lshlrev_b32_e32 v7, 24, v5
	s_mov_b32 s0, 0xf000000
	v_and_or_b32 v0, v7, s0, v0
	v_lshlrev_b32_e32 v7, 20, v1
	v_lshlrev_b32_e32 v10, 16, v8
	v_and_b32_e32 v7, 0xf00000, v7
	v_and_b32_e32 v10, 0xf0000, v10
	v_or3_b32 v0, v0, v7, v10
	v_lshlrev_b32_e32 v7, 8, v9
	v_lshlrev_b32_e32 v5, 4, v5
	v_and_b32_e32 v7, 0xf000, v7
	v_and_b32_e32 v5, 0xf00, v5
	v_or3_b32 v0, v0, v7, v5
	v_and_b32_e32 v1, 0xf0, v1
	v_lshrrev_b32_e32 v5, 4, v8
	v_mov_b32_e32 v7, 0
	v_add_u32_e32 v8, 16, v4
	v_or3_b32 v5, v0, v1, v5
	v_lshl_add_u64 v[0:1], v[6:7], 2, s[6:7]
	v_cmp_gt_i32_e64 s[0:1], s9, v8
	global_store_dword v[0:1], v5, off
	s_and_b64 s[2:3], vcc, s[0:1]
	v_ashrrev_i32_e32 v9, 31, v8
	v_mov_b32_e32 v5, 0
	s_and_saveexec_b64 s[0:1], s[2:3]
	s_cbranch_execz .LBB14_10
; %bb.9:
	v_lshl_add_u64 v[10:11], v[2:3], 0, v[8:9]
	global_load_ubyte v5, v[10:11], off
.LBB14_10:
	s_or_b64 exec, exec, s[0:1]
	v_or_b32_e32 v6, 1, v8
	v_cmp_gt_i32_e64 s[0:1], s9, v6
	s_and_b64 s[2:3], vcc, s[0:1]
	s_and_saveexec_b64 s[0:1], s[2:3]
	s_cbranch_execz .LBB14_12
; %bb.11:
	v_lshl_add_u64 v[6:7], v[2:3], 0, v[8:9]
	global_load_ubyte v7, v[6:7], off offset:1
.LBB14_12:
	s_or_b64 exec, exec, s[0:1]
	v_add_u32_e32 v8, 24, v4
	v_cmp_gt_i32_e64 s[0:1], s9, v8
	s_and_b64 s[2:3], vcc, s[0:1]
	v_mov_b32_e32 v10, 0
	v_ashrrev_i32_e32 v9, 31, v8
	v_mov_b32_e32 v6, 0
	s_and_saveexec_b64 s[0:1], s[2:3]
	s_cbranch_execz .LBB14_14
; %bb.13:
	v_lshl_add_u64 v[12:13], v[2:3], 0, v[8:9]
	global_load_ubyte v6, v[12:13], off
.LBB14_14:
	s_or_b64 exec, exec, s[0:1]
	v_or_b32_e32 v11, 1, v8
	v_cmp_gt_i32_e64 s[0:1], s9, v11
	s_and_b64 s[2:3], vcc, s[0:1]
	s_and_saveexec_b64 s[0:1], s[2:3]
	s_cbranch_execz .LBB14_16
; %bb.15:
	v_lshl_add_u64 v[8:9], v[2:3], 0, v[8:9]
	global_load_ubyte v10, v[8:9], off offset:1
.LBB14_16:
	s_or_b64 exec, exec, s[0:1]
	s_waitcnt vmcnt(0)
	v_lshlrev_b32_e32 v8, 28, v10
	v_lshlrev_b32_e32 v9, 24, v6
	s_mov_b32 s0, 0xf000000
	v_and_or_b32 v8, v9, s0, v8
	v_lshlrev_b32_e32 v9, 20, v7
	v_lshlrev_b32_e32 v11, 16, v5
	v_and_b32_e32 v9, 0xf00000, v9
	v_and_b32_e32 v11, 0xf0000, v11
	v_or3_b32 v8, v8, v9, v11
	v_lshlrev_b32_e32 v9, 8, v10
	v_lshlrev_b32_e32 v6, 4, v6
	v_and_b32_e32 v9, 0xf000, v9
	v_and_b32_e32 v6, 0xf00, v6
	v_or3_b32 v6, v8, v9, v6
	v_and_b32_e32 v7, 0xf0, v7
	v_lshrrev_b32_e32 v5, 4, v5
	v_or3_b32 v5, v6, v7, v5
	v_add_u32_e32 v6, 32, v4
	v_cmp_gt_i32_e64 s[0:1], s9, v6
	global_store_dword v[0:1], v5, off offset:4
	s_and_b64 s[2:3], vcc, s[0:1]
	v_mov_b32_e32 v5, 0
	v_ashrrev_i32_e32 v7, 31, v6
	v_mov_b32_e32 v8, 0
	s_and_saveexec_b64 s[0:1], s[2:3]
	s_cbranch_execz .LBB14_18
; %bb.17:
	v_lshl_add_u64 v[8:9], v[2:3], 0, v[6:7]
	global_load_ubyte v8, v[8:9], off
.LBB14_18:
	s_or_b64 exec, exec, s[0:1]
	v_or_b32_e32 v9, 1, v6
	v_cmp_gt_i32_e64 s[0:1], s9, v9
	s_and_b64 s[2:3], vcc, s[0:1]
	s_and_saveexec_b64 s[0:1], s[2:3]
	s_cbranch_execz .LBB14_20
; %bb.19:
	v_lshl_add_u64 v[6:7], v[2:3], 0, v[6:7]
	global_load_ubyte v5, v[6:7], off offset:1
.LBB14_20:
	s_or_b64 exec, exec, s[0:1]
	v_add_u32_e32 v6, 40, v4
	v_cmp_gt_i32_e64 s[0:1], s9, v6
	s_and_b64 s[2:3], vcc, s[0:1]
	v_mov_b32_e32 v10, 0
	v_ashrrev_i32_e32 v7, 31, v6
	v_mov_b32_e32 v9, 0
	s_and_saveexec_b64 s[0:1], s[2:3]
	s_cbranch_execz .LBB14_22
; %bb.21:
	v_lshl_add_u64 v[12:13], v[2:3], 0, v[6:7]
	global_load_ubyte v9, v[12:13], off
.LBB14_22:
	s_or_b64 exec, exec, s[0:1]
	v_or_b32_e32 v11, 1, v6
	v_cmp_gt_i32_e64 s[0:1], s9, v11
	s_and_b64 s[2:3], vcc, s[0:1]
	s_and_saveexec_b64 s[0:1], s[2:3]
	s_cbranch_execz .LBB14_24
; %bb.23:
	v_lshl_add_u64 v[6:7], v[2:3], 0, v[6:7]
	global_load_ubyte v10, v[6:7], off offset:1
.LBB14_24:
	s_or_b64 exec, exec, s[0:1]
	s_waitcnt vmcnt(0)
	v_lshlrev_b32_e32 v6, 28, v10
	v_lshlrev_b32_e32 v7, 24, v9
	s_mov_b32 s0, 0xf000000
	v_and_or_b32 v6, v7, s0, v6
	v_lshlrev_b32_e32 v7, 20, v5
	v_lshlrev_b32_e32 v11, 16, v8
	v_and_b32_e32 v7, 0xf00000, v7
	v_and_b32_e32 v11, 0xf0000, v11
	v_or3_b32 v6, v6, v7, v11
	v_lshlrev_b32_e32 v7, 8, v10
	v_lshlrev_b32_e32 v9, 4, v9
	v_and_b32_e32 v7, 0xf000, v7
	v_and_b32_e32 v9, 0xf00, v9
	v_or3_b32 v6, v6, v7, v9
	v_and_b32_e32 v5, 0xf0, v5
	v_lshrrev_b32_e32 v7, 4, v8
	v_or3_b32 v5, v6, v5, v7
	v_add_u32_e32 v6, 48, v4
	v_cmp_gt_i32_e64 s[0:1], s9, v6
	s_and_b64 s[2:3], vcc, s[0:1]
	v_mov_b32_e32 v8, 0
	v_ashrrev_i32_e32 v7, 31, v6
	v_mov_b32_e32 v9, 0
	global_store_dword v[0:1], v5, off offset:8
	s_and_saveexec_b64 s[0:1], s[2:3]
	s_cbranch_execz .LBB14_26
; %bb.25:
	v_lshl_add_u64 v[10:11], v[2:3], 0, v[6:7]
	global_load_ubyte v9, v[10:11], off
.LBB14_26:
	s_or_b64 exec, exec, s[0:1]
	v_or_b32_e32 v5, 1, v6
	v_cmp_gt_i32_e64 s[0:1], s9, v5
	s_and_b64 s[2:3], vcc, s[0:1]
	s_and_saveexec_b64 s[0:1], s[2:3]
	s_cbranch_execz .LBB14_28
; %bb.27:
	v_lshl_add_u64 v[6:7], v[2:3], 0, v[6:7]
	global_load_ubyte v8, v[6:7], off offset:1
.LBB14_28:
	s_or_b64 exec, exec, s[0:1]
	v_add_u32_e32 v4, 56, v4
	v_cmp_gt_i32_e64 s[0:1], s9, v4
	s_and_b64 s[2:3], vcc, s[0:1]
	v_mov_b32_e32 v7, 0
	v_ashrrev_i32_e32 v5, 31, v4
	v_mov_b32_e32 v6, 0
	s_and_saveexec_b64 s[0:1], s[2:3]
	s_cbranch_execz .LBB14_30
; %bb.29:
	v_lshl_add_u64 v[10:11], v[2:3], 0, v[4:5]
	global_load_ubyte v6, v[10:11], off
.LBB14_30:
	s_or_b64 exec, exec, s[0:1]
	v_or_b32_e32 v10, 1, v4
	v_cmp_gt_i32_e64 s[0:1], s9, v10
	s_and_b64 s[2:3], vcc, s[0:1]
	s_and_saveexec_b64 s[0:1], s[2:3]
	s_cbranch_execz .LBB14_32
; %bb.31:
	v_lshl_add_u64 v[2:3], v[2:3], 0, v[4:5]
	global_load_ubyte v7, v[2:3], off offset:1
.LBB14_32:
	s_or_b64 exec, exec, s[0:1]
	s_waitcnt vmcnt(0)
	v_lshlrev_b32_e32 v2, 28, v7
	v_lshlrev_b32_e32 v3, 24, v6
	s_mov_b32 s0, 0xf000000
	v_and_or_b32 v2, v3, s0, v2
	v_lshlrev_b32_e32 v3, 20, v8
	v_lshlrev_b32_e32 v4, 16, v9
	v_and_b32_e32 v3, 0xf00000, v3
	v_and_b32_e32 v4, 0xf0000, v4
	v_or3_b32 v2, v2, v3, v4
	v_lshlrev_b32_e32 v3, 8, v7
	v_lshlrev_b32_e32 v4, 4, v6
	v_and_b32_e32 v3, 0xf000, v3
	v_and_b32_e32 v4, 0xf00, v4
	v_or3_b32 v2, v2, v3, v4
	v_and_b32_e32 v3, 0xf0, v8
	v_lshrrev_b32_e32 v4, 4, v9
	v_or3_b32 v2, v2, v3, v4
	global_store_dword v[0:1], v2, off offset:12
	s_endpgm
	.section	.rodata,"a",@progbits
	.p2align	6, 0x0
	.amdhsa_kernel _ZN2at6native31matrix_to_m16n8k16_Bint4_layoutILi8EEEvN5torch10headeronly6detail27GenericPackedTensorAccessorINS4_14TensorAccessorIN3c108ArrayRefIlEEhLm1ENS3_17RestrictPtrTraitsEiEENS_6detail16IndexBoundsCheckILm2EiEEhLm2ESA_iEENS5_INS6_IS9_iLm3ESA_iEENSD_ILm4EiEEiLm4ESA_iEE
		.amdhsa_group_segment_fixed_size 0
		.amdhsa_private_segment_fixed_size 0
		.amdhsa_kernarg_size 64
		.amdhsa_user_sgpr_count 2
		.amdhsa_user_sgpr_dispatch_ptr 0
		.amdhsa_user_sgpr_queue_ptr 0
		.amdhsa_user_sgpr_kernarg_segment_ptr 1
		.amdhsa_user_sgpr_dispatch_id 0
		.amdhsa_user_sgpr_kernarg_preload_length 0
		.amdhsa_user_sgpr_kernarg_preload_offset 0
		.amdhsa_user_sgpr_private_segment_size 0
		.amdhsa_uses_dynamic_stack 0
		.amdhsa_enable_private_segment 0
		.amdhsa_system_sgpr_workgroup_id_x 1
		.amdhsa_system_sgpr_workgroup_id_y 1
		.amdhsa_system_sgpr_workgroup_id_z 0
		.amdhsa_system_sgpr_workgroup_info 0
		.amdhsa_system_vgpr_workitem_id 0
		.amdhsa_next_free_vgpr 14
		.amdhsa_next_free_sgpr 12
		.amdhsa_accum_offset 16
		.amdhsa_reserve_vcc 1
		.amdhsa_float_round_mode_32 0
		.amdhsa_float_round_mode_16_64 0
		.amdhsa_float_denorm_mode_32 3
		.amdhsa_float_denorm_mode_16_64 3
		.amdhsa_dx10_clamp 1
		.amdhsa_ieee_mode 1
		.amdhsa_fp16_overflow 0
		.amdhsa_tg_split 0
		.amdhsa_exception_fp_ieee_invalid_op 0
		.amdhsa_exception_fp_denorm_src 0
		.amdhsa_exception_fp_ieee_div_zero 0
		.amdhsa_exception_fp_ieee_overflow 0
		.amdhsa_exception_fp_ieee_underflow 0
		.amdhsa_exception_fp_ieee_inexact 0
		.amdhsa_exception_int_div_zero 0
	.end_amdhsa_kernel
	.section	.text._ZN2at6native31matrix_to_m16n8k16_Bint4_layoutILi8EEEvN5torch10headeronly6detail27GenericPackedTensorAccessorINS4_14TensorAccessorIN3c108ArrayRefIlEEhLm1ENS3_17RestrictPtrTraitsEiEENS_6detail16IndexBoundsCheckILm2EiEEhLm2ESA_iEENS5_INS6_IS9_iLm3ESA_iEENSD_ILm4EiEEiLm4ESA_iEE,"axG",@progbits,_ZN2at6native31matrix_to_m16n8k16_Bint4_layoutILi8EEEvN5torch10headeronly6detail27GenericPackedTensorAccessorINS4_14TensorAccessorIN3c108ArrayRefIlEEhLm1ENS3_17RestrictPtrTraitsEiEENS_6detail16IndexBoundsCheckILm2EiEEhLm2ESA_iEENS5_INS6_IS9_iLm3ESA_iEENSD_ILm4EiEEiLm4ESA_iEE,comdat
.Lfunc_end14:
	.size	_ZN2at6native31matrix_to_m16n8k16_Bint4_layoutILi8EEEvN5torch10headeronly6detail27GenericPackedTensorAccessorINS4_14TensorAccessorIN3c108ArrayRefIlEEhLm1ENS3_17RestrictPtrTraitsEiEENS_6detail16IndexBoundsCheckILm2EiEEhLm2ESA_iEENS5_INS6_IS9_iLm3ESA_iEENSD_ILm4EiEEiLm4ESA_iEE, .Lfunc_end14-_ZN2at6native31matrix_to_m16n8k16_Bint4_layoutILi8EEEvN5torch10headeronly6detail27GenericPackedTensorAccessorINS4_14TensorAccessorIN3c108ArrayRefIlEEhLm1ENS3_17RestrictPtrTraitsEiEENS_6detail16IndexBoundsCheckILm2EiEEhLm2ESA_iEENS5_INS6_IS9_iLm3ESA_iEENSD_ILm4EiEEiLm4ESA_iEE
                                        ; -- End function
	.set _ZN2at6native31matrix_to_m16n8k16_Bint4_layoutILi8EEEvN5torch10headeronly6detail27GenericPackedTensorAccessorINS4_14TensorAccessorIN3c108ArrayRefIlEEhLm1ENS3_17RestrictPtrTraitsEiEENS_6detail16IndexBoundsCheckILm2EiEEhLm2ESA_iEENS5_INS6_IS9_iLm3ESA_iEENSD_ILm4EiEEiLm4ESA_iEE.num_vgpr, 14
	.set _ZN2at6native31matrix_to_m16n8k16_Bint4_layoutILi8EEEvN5torch10headeronly6detail27GenericPackedTensorAccessorINS4_14TensorAccessorIN3c108ArrayRefIlEEhLm1ENS3_17RestrictPtrTraitsEiEENS_6detail16IndexBoundsCheckILm2EiEEhLm2ESA_iEENS5_INS6_IS9_iLm3ESA_iEENSD_ILm4EiEEiLm4ESA_iEE.num_agpr, 0
	.set _ZN2at6native31matrix_to_m16n8k16_Bint4_layoutILi8EEEvN5torch10headeronly6detail27GenericPackedTensorAccessorINS4_14TensorAccessorIN3c108ArrayRefIlEEhLm1ENS3_17RestrictPtrTraitsEiEENS_6detail16IndexBoundsCheckILm2EiEEhLm2ESA_iEENS5_INS6_IS9_iLm3ESA_iEENSD_ILm4EiEEiLm4ESA_iEE.numbered_sgpr, 12
	.set _ZN2at6native31matrix_to_m16n8k16_Bint4_layoutILi8EEEvN5torch10headeronly6detail27GenericPackedTensorAccessorINS4_14TensorAccessorIN3c108ArrayRefIlEEhLm1ENS3_17RestrictPtrTraitsEiEENS_6detail16IndexBoundsCheckILm2EiEEhLm2ESA_iEENS5_INS6_IS9_iLm3ESA_iEENSD_ILm4EiEEiLm4ESA_iEE.num_named_barrier, 0
	.set _ZN2at6native31matrix_to_m16n8k16_Bint4_layoutILi8EEEvN5torch10headeronly6detail27GenericPackedTensorAccessorINS4_14TensorAccessorIN3c108ArrayRefIlEEhLm1ENS3_17RestrictPtrTraitsEiEENS_6detail16IndexBoundsCheckILm2EiEEhLm2ESA_iEENS5_INS6_IS9_iLm3ESA_iEENSD_ILm4EiEEiLm4ESA_iEE.private_seg_size, 0
	.set _ZN2at6native31matrix_to_m16n8k16_Bint4_layoutILi8EEEvN5torch10headeronly6detail27GenericPackedTensorAccessorINS4_14TensorAccessorIN3c108ArrayRefIlEEhLm1ENS3_17RestrictPtrTraitsEiEENS_6detail16IndexBoundsCheckILm2EiEEhLm2ESA_iEENS5_INS6_IS9_iLm3ESA_iEENSD_ILm4EiEEiLm4ESA_iEE.uses_vcc, 1
	.set _ZN2at6native31matrix_to_m16n8k16_Bint4_layoutILi8EEEvN5torch10headeronly6detail27GenericPackedTensorAccessorINS4_14TensorAccessorIN3c108ArrayRefIlEEhLm1ENS3_17RestrictPtrTraitsEiEENS_6detail16IndexBoundsCheckILm2EiEEhLm2ESA_iEENS5_INS6_IS9_iLm3ESA_iEENSD_ILm4EiEEiLm4ESA_iEE.uses_flat_scratch, 0
	.set _ZN2at6native31matrix_to_m16n8k16_Bint4_layoutILi8EEEvN5torch10headeronly6detail27GenericPackedTensorAccessorINS4_14TensorAccessorIN3c108ArrayRefIlEEhLm1ENS3_17RestrictPtrTraitsEiEENS_6detail16IndexBoundsCheckILm2EiEEhLm2ESA_iEENS5_INS6_IS9_iLm3ESA_iEENSD_ILm4EiEEiLm4ESA_iEE.has_dyn_sized_stack, 0
	.set _ZN2at6native31matrix_to_m16n8k16_Bint4_layoutILi8EEEvN5torch10headeronly6detail27GenericPackedTensorAccessorINS4_14TensorAccessorIN3c108ArrayRefIlEEhLm1ENS3_17RestrictPtrTraitsEiEENS_6detail16IndexBoundsCheckILm2EiEEhLm2ESA_iEENS5_INS6_IS9_iLm3ESA_iEENSD_ILm4EiEEiLm4ESA_iEE.has_recursion, 0
	.set _ZN2at6native31matrix_to_m16n8k16_Bint4_layoutILi8EEEvN5torch10headeronly6detail27GenericPackedTensorAccessorINS4_14TensorAccessorIN3c108ArrayRefIlEEhLm1ENS3_17RestrictPtrTraitsEiEENS_6detail16IndexBoundsCheckILm2EiEEhLm2ESA_iEENS5_INS6_IS9_iLm3ESA_iEENSD_ILm4EiEEiLm4ESA_iEE.has_indirect_call, 0
	.section	.AMDGPU.csdata,"",@progbits
; Kernel info:
; codeLenInByte = 1412
; TotalNumSgprs: 18
; NumVgprs: 14
; NumAgprs: 0
; TotalNumVgprs: 14
; ScratchSize: 0
; MemoryBound: 0
; FloatMode: 240
; IeeeMode: 1
; LDSByteSize: 0 bytes/workgroup (compile time only)
; SGPRBlocks: 2
; VGPRBlocks: 1
; NumSGPRsForWavesPerEU: 18
; NumVGPRsForWavesPerEU: 14
; AccumOffset: 16
; Occupancy: 8
; WaveLimiterHint : 0
; COMPUTE_PGM_RSRC2:SCRATCH_EN: 0
; COMPUTE_PGM_RSRC2:USER_SGPR: 2
; COMPUTE_PGM_RSRC2:TRAP_HANDLER: 0
; COMPUTE_PGM_RSRC2:TGID_X_EN: 1
; COMPUTE_PGM_RSRC2:TGID_Y_EN: 1
; COMPUTE_PGM_RSRC2:TGID_Z_EN: 0
; COMPUTE_PGM_RSRC2:TIDIG_COMP_CNT: 0
; COMPUTE_PGM_RSRC3_GFX90A:ACCUM_OFFSET: 3
; COMPUTE_PGM_RSRC3_GFX90A:TG_SPLIT: 0
	.section	.AMDGPU.gpr_maximums,"",@progbits
	.set amdgpu.max_num_vgpr, 0
	.set amdgpu.max_num_agpr, 0
	.set amdgpu.max_num_sgpr, 0
	.section	.AMDGPU.csdata,"",@progbits
	.type	__hip_cuid_90b27069dc33e1eb,@object ; @__hip_cuid_90b27069dc33e1eb
	.section	.bss,"aw",@nobits
	.globl	__hip_cuid_90b27069dc33e1eb
__hip_cuid_90b27069dc33e1eb:
	.byte	0                               ; 0x0
	.size	__hip_cuid_90b27069dc33e1eb, 1

	.ident	"AMD clang version 22.0.0git (https://github.com/RadeonOpenCompute/llvm-project roc-7.2.4 26084 f58b06dce1f9c15707c5f808fd002e18c2accf7e)"
	.section	".note.GNU-stack","",@progbits
	.addrsig
	.addrsig_sym __hip_cuid_90b27069dc33e1eb
	.amdgpu_metadata
---
amdhsa.kernels:
  - .agpr_count:     0
    .args:
      - .actual_access:  read_only
        .address_space:  global
        .offset:         0
        .size:           8
        .value_kind:     global_buffer
      - .actual_access:  read_only
        .address_space:  global
        .offset:         8
        .size:           8
        .value_kind:     global_buffer
      - .actual_access:  read_only
        .address_space:  global
        .offset:         16
        .size:           8
        .value_kind:     global_buffer
      - .actual_access:  write_only
        .address_space:  global
        .offset:         24
        .size:           8
        .value_kind:     global_buffer
      - .offset:         32
        .size:           4
        .value_kind:     by_value
      - .offset:         36
        .size:           4
        .value_kind:     by_value
      - .offset:         40
        .size:           4
        .value_kind:     by_value
      - .offset:         44
        .size:           4
        .value_kind:     by_value
      - .offset:         48
        .size:           4
        .value_kind:     by_value
      - .offset:         52
        .size:           4
        .value_kind:     by_value
    .group_segment_fixed_size: 8192
    .kernarg_segment_align: 8
    .kernarg_segment_size: 56
    .language:       OpenCL C
    .language_version:
      - 2
      - 0
    .max_flat_workgroup_size: 512
    .name:           _ZN2at6native30tinygemm_m16n8k16_chunk_kernelINS0_10ALayout_RMILNS0_14KReductionTypeE0EEENS0_15BLayout_TC_int4ILi2ELi32EEES4_Li8ELi8EEEvPKvS8_S8_Pviiiiii
    .private_segment_fixed_size: 0
    .sgpr_count:     37
    .sgpr_spill_count: 0
    .symbol:         _ZN2at6native30tinygemm_m16n8k16_chunk_kernelINS0_10ALayout_RMILNS0_14KReductionTypeE0EEENS0_15BLayout_TC_int4ILi2ELi32EEES4_Li8ELi8EEEvPKvS8_S8_Pviiiiii.kd
    .uniform_work_group_size: 1
    .uses_dynamic_stack: false
    .vgpr_count:     65
    .vgpr_spill_count: 0
    .wavefront_size: 64
  - .agpr_count:     0
    .args:
      - .actual_access:  read_only
        .address_space:  global
        .offset:         0
        .size:           8
        .value_kind:     global_buffer
      - .actual_access:  read_only
        .address_space:  global
        .offset:         8
        .size:           8
        .value_kind:     global_buffer
      - .actual_access:  read_only
        .address_space:  global
        .offset:         16
        .size:           8
        .value_kind:     global_buffer
      - .actual_access:  write_only
        .address_space:  global
        .offset:         24
        .size:           8
        .value_kind:     global_buffer
      - .offset:         32
        .size:           4
        .value_kind:     by_value
      - .offset:         36
        .size:           4
        .value_kind:     by_value
      - .offset:         40
        .size:           4
        .value_kind:     by_value
      - .offset:         44
        .size:           4
        .value_kind:     by_value
      - .offset:         48
        .size:           4
        .value_kind:     by_value
      - .offset:         52
        .size:           4
        .value_kind:     by_value
    .group_segment_fixed_size: 8192
    .kernarg_segment_align: 8
    .kernarg_segment_size: 56
    .language:       OpenCL C
    .language_version:
      - 2
      - 0
    .max_flat_workgroup_size: 512
    .name:           _ZN2at6native30tinygemm_m16n8k16_chunk_kernelINS0_10ALayout_RMILNS0_14KReductionTypeE0EEENS0_15BLayout_TC_int4ILi4ELi32EEES4_Li8ELi8EEEvPKvS8_S8_Pviiiiii
    .private_segment_fixed_size: 0
    .sgpr_count:     38
    .sgpr_spill_count: 0
    .symbol:         _ZN2at6native30tinygemm_m16n8k16_chunk_kernelINS0_10ALayout_RMILNS0_14KReductionTypeE0EEENS0_15BLayout_TC_int4ILi4ELi32EEES4_Li8ELi8EEEvPKvS8_S8_Pviiiiii.kd
    .uniform_work_group_size: 1
    .uses_dynamic_stack: false
    .vgpr_count:     65
    .vgpr_spill_count: 0
    .wavefront_size: 64
  - .agpr_count:     0
    .args:
      - .actual_access:  read_only
        .address_space:  global
        .offset:         0
        .size:           8
        .value_kind:     global_buffer
      - .actual_access:  read_only
        .address_space:  global
        .offset:         8
        .size:           8
        .value_kind:     global_buffer
      - .actual_access:  read_only
        .address_space:  global
        .offset:         16
        .size:           8
        .value_kind:     global_buffer
      - .actual_access:  write_only
        .address_space:  global
        .offset:         24
        .size:           8
        .value_kind:     global_buffer
      - .offset:         32
        .size:           4
        .value_kind:     by_value
      - .offset:         36
        .size:           4
        .value_kind:     by_value
      - .offset:         40
        .size:           4
        .value_kind:     by_value
      - .offset:         44
        .size:           4
        .value_kind:     by_value
      - .offset:         48
        .size:           4
        .value_kind:     by_value
      - .offset:         52
        .size:           4
        .value_kind:     by_value
    .group_segment_fixed_size: 8192
    .kernarg_segment_align: 8
    .kernarg_segment_size: 56
    .language:       OpenCL C
    .language_version:
      - 2
      - 0
    .max_flat_workgroup_size: 512
    .name:           _ZN2at6native30tinygemm_m16n8k16_chunk_kernelINS0_10ALayout_RMILNS0_14KReductionTypeE0EEENS0_15BLayout_TC_int4ILi8ELi32EEES4_Li8ELi8EEEvPKvS8_S8_Pviiiiii
    .private_segment_fixed_size: 0
    .sgpr_count:     37
    .sgpr_spill_count: 0
    .symbol:         _ZN2at6native30tinygemm_m16n8k16_chunk_kernelINS0_10ALayout_RMILNS0_14KReductionTypeE0EEENS0_15BLayout_TC_int4ILi8ELi32EEES4_Li8ELi8EEEvPKvS8_S8_Pviiiiii.kd
    .uniform_work_group_size: 1
    .uses_dynamic_stack: false
    .vgpr_count:     66
    .vgpr_spill_count: 0
    .wavefront_size: 64
  - .agpr_count:     0
    .args:
      - .actual_access:  read_only
        .address_space:  global
        .offset:         0
        .size:           8
        .value_kind:     global_buffer
      - .actual_access:  read_only
        .address_space:  global
        .offset:         8
        .size:           8
        .value_kind:     global_buffer
      - .actual_access:  read_only
        .address_space:  global
        .offset:         16
        .size:           8
        .value_kind:     global_buffer
      - .actual_access:  write_only
        .address_space:  global
        .offset:         24
        .size:           8
        .value_kind:     global_buffer
      - .offset:         32
        .size:           4
        .value_kind:     by_value
      - .offset:         36
        .size:           4
        .value_kind:     by_value
      - .offset:         40
        .size:           4
        .value_kind:     by_value
      - .offset:         44
        .size:           4
        .value_kind:     by_value
      - .offset:         48
        .size:           4
        .value_kind:     by_value
      - .offset:         52
        .size:           4
        .value_kind:     by_value
    .group_segment_fixed_size: 8192
    .kernarg_segment_align: 8
    .kernarg_segment_size: 56
    .language:       OpenCL C
    .language_version:
      - 2
      - 0
    .max_flat_workgroup_size: 512
    .name:           _ZN2at6native30tinygemm_m16n8k16_chunk_kernelINS0_10ALayout_RMILNS0_14KReductionTypeE0EEENS0_15BLayout_TC_int4ILi2ELi64EEES4_Li8ELi8EEEvPKvS8_S8_Pviiiiii
    .private_segment_fixed_size: 0
    .sgpr_count:     33
    .sgpr_spill_count: 0
    .symbol:         _ZN2at6native30tinygemm_m16n8k16_chunk_kernelINS0_10ALayout_RMILNS0_14KReductionTypeE0EEENS0_15BLayout_TC_int4ILi2ELi64EEES4_Li8ELi8EEEvPKvS8_S8_Pviiiiii.kd
    .uniform_work_group_size: 1
    .uses_dynamic_stack: false
    .vgpr_count:     65
    .vgpr_spill_count: 0
    .wavefront_size: 64
  - .agpr_count:     0
    .args:
      - .actual_access:  read_only
        .address_space:  global
        .offset:         0
        .size:           8
        .value_kind:     global_buffer
      - .actual_access:  read_only
        .address_space:  global
        .offset:         8
        .size:           8
        .value_kind:     global_buffer
      - .actual_access:  read_only
        .address_space:  global
        .offset:         16
        .size:           8
        .value_kind:     global_buffer
      - .actual_access:  write_only
        .address_space:  global
        .offset:         24
        .size:           8
        .value_kind:     global_buffer
      - .offset:         32
        .size:           4
        .value_kind:     by_value
      - .offset:         36
        .size:           4
        .value_kind:     by_value
      - .offset:         40
        .size:           4
        .value_kind:     by_value
      - .offset:         44
        .size:           4
        .value_kind:     by_value
      - .offset:         48
        .size:           4
        .value_kind:     by_value
      - .offset:         52
        .size:           4
        .value_kind:     by_value
    .group_segment_fixed_size: 8192
    .kernarg_segment_align: 8
    .kernarg_segment_size: 56
    .language:       OpenCL C
    .language_version:
      - 2
      - 0
    .max_flat_workgroup_size: 512
    .name:           _ZN2at6native30tinygemm_m16n8k16_chunk_kernelINS0_10ALayout_RMILNS0_14KReductionTypeE0EEENS0_15BLayout_TC_int4ILi4ELi64EEES4_Li8ELi8EEEvPKvS8_S8_Pviiiiii
    .private_segment_fixed_size: 0
    .sgpr_count:     34
    .sgpr_spill_count: 0
    .symbol:         _ZN2at6native30tinygemm_m16n8k16_chunk_kernelINS0_10ALayout_RMILNS0_14KReductionTypeE0EEENS0_15BLayout_TC_int4ILi4ELi64EEES4_Li8ELi8EEEvPKvS8_S8_Pviiiiii.kd
    .uniform_work_group_size: 1
    .uses_dynamic_stack: false
    .vgpr_count:     66
    .vgpr_spill_count: 0
    .wavefront_size: 64
  - .agpr_count:     0
    .args:
      - .actual_access:  read_only
        .address_space:  global
        .offset:         0
        .size:           8
        .value_kind:     global_buffer
      - .actual_access:  read_only
        .address_space:  global
        .offset:         8
        .size:           8
        .value_kind:     global_buffer
      - .actual_access:  read_only
        .address_space:  global
        .offset:         16
        .size:           8
        .value_kind:     global_buffer
      - .actual_access:  write_only
        .address_space:  global
        .offset:         24
        .size:           8
        .value_kind:     global_buffer
      - .offset:         32
        .size:           4
        .value_kind:     by_value
      - .offset:         36
        .size:           4
        .value_kind:     by_value
      - .offset:         40
        .size:           4
        .value_kind:     by_value
      - .offset:         44
        .size:           4
        .value_kind:     by_value
      - .offset:         48
        .size:           4
        .value_kind:     by_value
      - .offset:         52
        .size:           4
        .value_kind:     by_value
    .group_segment_fixed_size: 8192
    .kernarg_segment_align: 8
    .kernarg_segment_size: 56
    .language:       OpenCL C
    .language_version:
      - 2
      - 0
    .max_flat_workgroup_size: 512
    .name:           _ZN2at6native30tinygemm_m16n8k16_chunk_kernelINS0_10ALayout_RMILNS0_14KReductionTypeE0EEENS0_15BLayout_TC_int4ILi8ELi64EEES4_Li8ELi8EEEvPKvS8_S8_Pviiiiii
    .private_segment_fixed_size: 0
    .sgpr_count:     33
    .sgpr_spill_count: 0
    .symbol:         _ZN2at6native30tinygemm_m16n8k16_chunk_kernelINS0_10ALayout_RMILNS0_14KReductionTypeE0EEENS0_15BLayout_TC_int4ILi8ELi64EEES4_Li8ELi8EEEvPKvS8_S8_Pviiiiii.kd
    .uniform_work_group_size: 1
    .uses_dynamic_stack: false
    .vgpr_count:     66
    .vgpr_spill_count: 0
    .wavefront_size: 64
  - .agpr_count:     0
    .args:
      - .actual_access:  read_only
        .address_space:  global
        .offset:         0
        .size:           8
        .value_kind:     global_buffer
      - .actual_access:  read_only
        .address_space:  global
        .offset:         8
        .size:           8
        .value_kind:     global_buffer
      - .actual_access:  read_only
        .address_space:  global
        .offset:         16
        .size:           8
        .value_kind:     global_buffer
      - .actual_access:  write_only
        .address_space:  global
        .offset:         24
        .size:           8
        .value_kind:     global_buffer
      - .offset:         32
        .size:           4
        .value_kind:     by_value
      - .offset:         36
        .size:           4
        .value_kind:     by_value
      - .offset:         40
        .size:           4
        .value_kind:     by_value
      - .offset:         44
        .size:           4
        .value_kind:     by_value
      - .offset:         48
        .size:           4
        .value_kind:     by_value
      - .offset:         52
        .size:           4
        .value_kind:     by_value
    .group_segment_fixed_size: 8192
    .kernarg_segment_align: 8
    .kernarg_segment_size: 56
    .language:       OpenCL C
    .language_version:
      - 2
      - 0
    .max_flat_workgroup_size: 512
    .name:           _ZN2at6native30tinygemm_m16n8k16_chunk_kernelINS0_10ALayout_RMILNS0_14KReductionTypeE0EEENS0_15BLayout_TC_int4ILi2ELi128EEES4_Li8ELi8EEEvPKvS8_S8_Pviiiiii
    .private_segment_fixed_size: 0
    .sgpr_count:     31
    .sgpr_spill_count: 0
    .symbol:         _ZN2at6native30tinygemm_m16n8k16_chunk_kernelINS0_10ALayout_RMILNS0_14KReductionTypeE0EEENS0_15BLayout_TC_int4ILi2ELi128EEES4_Li8ELi8EEEvPKvS8_S8_Pviiiiii.kd
    .uniform_work_group_size: 1
    .uses_dynamic_stack: false
    .vgpr_count:     64
    .vgpr_spill_count: 0
    .wavefront_size: 64
  - .agpr_count:     0
    .args:
      - .actual_access:  read_only
        .address_space:  global
        .offset:         0
        .size:           8
        .value_kind:     global_buffer
      - .actual_access:  read_only
        .address_space:  global
        .offset:         8
        .size:           8
        .value_kind:     global_buffer
      - .actual_access:  read_only
        .address_space:  global
        .offset:         16
        .size:           8
        .value_kind:     global_buffer
      - .actual_access:  write_only
        .address_space:  global
        .offset:         24
        .size:           8
        .value_kind:     global_buffer
      - .offset:         32
        .size:           4
        .value_kind:     by_value
      - .offset:         36
        .size:           4
        .value_kind:     by_value
      - .offset:         40
        .size:           4
        .value_kind:     by_value
      - .offset:         44
        .size:           4
        .value_kind:     by_value
      - .offset:         48
        .size:           4
        .value_kind:     by_value
      - .offset:         52
        .size:           4
        .value_kind:     by_value
    .group_segment_fixed_size: 8192
    .kernarg_segment_align: 8
    .kernarg_segment_size: 56
    .language:       OpenCL C
    .language_version:
      - 2
      - 0
    .max_flat_workgroup_size: 512
    .name:           _ZN2at6native30tinygemm_m16n8k16_chunk_kernelINS0_10ALayout_RMILNS0_14KReductionTypeE0EEENS0_15BLayout_TC_int4ILi4ELi128EEES4_Li8ELi8EEEvPKvS8_S8_Pviiiiii
    .private_segment_fixed_size: 0
    .sgpr_count:     32
    .sgpr_spill_count: 0
    .symbol:         _ZN2at6native30tinygemm_m16n8k16_chunk_kernelINS0_10ALayout_RMILNS0_14KReductionTypeE0EEENS0_15BLayout_TC_int4ILi4ELi128EEES4_Li8ELi8EEEvPKvS8_S8_Pviiiiii.kd
    .uniform_work_group_size: 1
    .uses_dynamic_stack: false
    .vgpr_count:     64
    .vgpr_spill_count: 0
    .wavefront_size: 64
  - .agpr_count:     0
    .args:
      - .actual_access:  read_only
        .address_space:  global
        .offset:         0
        .size:           8
        .value_kind:     global_buffer
      - .actual_access:  read_only
        .address_space:  global
        .offset:         8
        .size:           8
        .value_kind:     global_buffer
      - .actual_access:  read_only
        .address_space:  global
        .offset:         16
        .size:           8
        .value_kind:     global_buffer
      - .actual_access:  write_only
        .address_space:  global
        .offset:         24
        .size:           8
        .value_kind:     global_buffer
      - .offset:         32
        .size:           4
        .value_kind:     by_value
      - .offset:         36
        .size:           4
        .value_kind:     by_value
      - .offset:         40
        .size:           4
        .value_kind:     by_value
      - .offset:         44
        .size:           4
        .value_kind:     by_value
      - .offset:         48
        .size:           4
        .value_kind:     by_value
      - .offset:         52
        .size:           4
        .value_kind:     by_value
    .group_segment_fixed_size: 8192
    .kernarg_segment_align: 8
    .kernarg_segment_size: 56
    .language:       OpenCL C
    .language_version:
      - 2
      - 0
    .max_flat_workgroup_size: 512
    .name:           _ZN2at6native30tinygemm_m16n8k16_chunk_kernelINS0_10ALayout_RMILNS0_14KReductionTypeE0EEENS0_15BLayout_TC_int4ILi8ELi128EEES4_Li8ELi8EEEvPKvS8_S8_Pviiiiii
    .private_segment_fixed_size: 0
    .sgpr_count:     31
    .sgpr_spill_count: 0
    .symbol:         _ZN2at6native30tinygemm_m16n8k16_chunk_kernelINS0_10ALayout_RMILNS0_14KReductionTypeE0EEENS0_15BLayout_TC_int4ILi8ELi128EEES4_Li8ELi8EEEvPKvS8_S8_Pviiiiii.kd
    .uniform_work_group_size: 1
    .uses_dynamic_stack: false
    .vgpr_count:     67
    .vgpr_spill_count: 0
    .wavefront_size: 64
  - .agpr_count:     0
    .args:
      - .actual_access:  read_only
        .address_space:  global
        .offset:         0
        .size:           8
        .value_kind:     global_buffer
      - .actual_access:  read_only
        .address_space:  global
        .offset:         8
        .size:           8
        .value_kind:     global_buffer
      - .actual_access:  read_only
        .address_space:  global
        .offset:         16
        .size:           8
        .value_kind:     global_buffer
      - .actual_access:  write_only
        .address_space:  global
        .offset:         24
        .size:           8
        .value_kind:     global_buffer
      - .offset:         32
        .size:           4
        .value_kind:     by_value
      - .offset:         36
        .size:           4
        .value_kind:     by_value
      - .offset:         40
        .size:           4
        .value_kind:     by_value
      - .offset:         44
        .size:           4
        .value_kind:     by_value
      - .offset:         48
        .size:           4
        .value_kind:     by_value
      - .offset:         52
        .size:           4
        .value_kind:     by_value
    .group_segment_fixed_size: 8192
    .kernarg_segment_align: 8
    .kernarg_segment_size: 56
    .language:       OpenCL C
    .language_version:
      - 2
      - 0
    .max_flat_workgroup_size: 512
    .name:           _ZN2at6native30tinygemm_m16n8k16_chunk_kernelINS0_10ALayout_RMILNS0_14KReductionTypeE0EEENS0_15BLayout_TC_int4ILi2ELi256EEES4_Li8ELi8EEEvPKvS8_S8_Pviiiiii
    .private_segment_fixed_size: 0
    .sgpr_count:     31
    .sgpr_spill_count: 0
    .symbol:         _ZN2at6native30tinygemm_m16n8k16_chunk_kernelINS0_10ALayout_RMILNS0_14KReductionTypeE0EEENS0_15BLayout_TC_int4ILi2ELi256EEES4_Li8ELi8EEEvPKvS8_S8_Pviiiiii.kd
    .uniform_work_group_size: 1
    .uses_dynamic_stack: false
    .vgpr_count:     64
    .vgpr_spill_count: 0
    .wavefront_size: 64
  - .agpr_count:     0
    .args:
      - .actual_access:  read_only
        .address_space:  global
        .offset:         0
        .size:           8
        .value_kind:     global_buffer
      - .actual_access:  read_only
        .address_space:  global
        .offset:         8
        .size:           8
        .value_kind:     global_buffer
      - .actual_access:  read_only
        .address_space:  global
        .offset:         16
        .size:           8
        .value_kind:     global_buffer
      - .actual_access:  write_only
        .address_space:  global
        .offset:         24
        .size:           8
        .value_kind:     global_buffer
      - .offset:         32
        .size:           4
        .value_kind:     by_value
      - .offset:         36
        .size:           4
        .value_kind:     by_value
      - .offset:         40
        .size:           4
        .value_kind:     by_value
      - .offset:         44
        .size:           4
        .value_kind:     by_value
      - .offset:         48
        .size:           4
        .value_kind:     by_value
      - .offset:         52
        .size:           4
        .value_kind:     by_value
    .group_segment_fixed_size: 8192
    .kernarg_segment_align: 8
    .kernarg_segment_size: 56
    .language:       OpenCL C
    .language_version:
      - 2
      - 0
    .max_flat_workgroup_size: 512
    .name:           _ZN2at6native30tinygemm_m16n8k16_chunk_kernelINS0_10ALayout_RMILNS0_14KReductionTypeE0EEENS0_15BLayout_TC_int4ILi4ELi256EEES4_Li8ELi8EEEvPKvS8_S8_Pviiiiii
    .private_segment_fixed_size: 0
    .sgpr_count:     32
    .sgpr_spill_count: 0
    .symbol:         _ZN2at6native30tinygemm_m16n8k16_chunk_kernelINS0_10ALayout_RMILNS0_14KReductionTypeE0EEENS0_15BLayout_TC_int4ILi4ELi256EEES4_Li8ELi8EEEvPKvS8_S8_Pviiiiii.kd
    .uniform_work_group_size: 1
    .uses_dynamic_stack: false
    .vgpr_count:     64
    .vgpr_spill_count: 0
    .wavefront_size: 64
  - .agpr_count:     0
    .args:
      - .actual_access:  read_only
        .address_space:  global
        .offset:         0
        .size:           8
        .value_kind:     global_buffer
      - .actual_access:  read_only
        .address_space:  global
        .offset:         8
        .size:           8
        .value_kind:     global_buffer
      - .actual_access:  read_only
        .address_space:  global
        .offset:         16
        .size:           8
        .value_kind:     global_buffer
      - .actual_access:  write_only
        .address_space:  global
        .offset:         24
        .size:           8
        .value_kind:     global_buffer
      - .offset:         32
        .size:           4
        .value_kind:     by_value
      - .offset:         36
        .size:           4
        .value_kind:     by_value
      - .offset:         40
        .size:           4
        .value_kind:     by_value
      - .offset:         44
        .size:           4
        .value_kind:     by_value
      - .offset:         48
        .size:           4
        .value_kind:     by_value
      - .offset:         52
        .size:           4
        .value_kind:     by_value
    .group_segment_fixed_size: 8192
    .kernarg_segment_align: 8
    .kernarg_segment_size: 56
    .language:       OpenCL C
    .language_version:
      - 2
      - 0
    .max_flat_workgroup_size: 512
    .name:           _ZN2at6native30tinygemm_m16n8k16_chunk_kernelINS0_10ALayout_RMILNS0_14KReductionTypeE0EEENS0_15BLayout_TC_int4ILi8ELi256EEES4_Li8ELi8EEEvPKvS8_S8_Pviiiiii
    .private_segment_fixed_size: 0
    .sgpr_count:     31
    .sgpr_spill_count: 0
    .symbol:         _ZN2at6native30tinygemm_m16n8k16_chunk_kernelINS0_10ALayout_RMILNS0_14KReductionTypeE0EEENS0_15BLayout_TC_int4ILi8ELi256EEES4_Li8ELi8EEEvPKvS8_S8_Pviiiiii.kd
    .uniform_work_group_size: 1
    .uses_dynamic_stack: false
    .vgpr_count:     67
    .vgpr_spill_count: 0
    .wavefront_size: 64
  - .agpr_count:     0
    .args:
      - .offset:         0
        .size:           24
        .value_kind:     by_value
      - .offset:         24
        .size:           40
        .value_kind:     by_value
    .group_segment_fixed_size: 0
    .kernarg_segment_align: 8
    .kernarg_segment_size: 64
    .language:       OpenCL C
    .language_version:
      - 2
      - 0
    .max_flat_workgroup_size: 1024
    .name:           _ZN2at6native31matrix_to_m16n8k16_Bint4_layoutILi2EEEvN5torch10headeronly6detail27GenericPackedTensorAccessorINS4_14TensorAccessorIN3c108ArrayRefIlEEhLm1ENS3_17RestrictPtrTraitsEiEENS_6detail16IndexBoundsCheckILm2EiEEhLm2ESA_iEENS5_INS6_IS9_iLm3ESA_iEENSD_ILm4EiEEiLm4ESA_iEE
    .private_segment_fixed_size: 0
    .sgpr_count:     18
    .sgpr_spill_count: 0
    .symbol:         _ZN2at6native31matrix_to_m16n8k16_Bint4_layoutILi2EEEvN5torch10headeronly6detail27GenericPackedTensorAccessorINS4_14TensorAccessorIN3c108ArrayRefIlEEhLm1ENS3_17RestrictPtrTraitsEiEENS_6detail16IndexBoundsCheckILm2EiEEhLm2ESA_iEENS5_INS6_IS9_iLm3ESA_iEENSD_ILm4EiEEiLm4ESA_iEE.kd
    .uniform_work_group_size: 1
    .uses_dynamic_stack: false
    .vgpr_count:     12
    .vgpr_spill_count: 0
    .wavefront_size: 64
  - .agpr_count:     0
    .args:
      - .offset:         0
        .size:           24
        .value_kind:     by_value
      - .offset:         24
        .size:           40
        .value_kind:     by_value
    .group_segment_fixed_size: 0
    .kernarg_segment_align: 8
    .kernarg_segment_size: 64
    .language:       OpenCL C
    .language_version:
      - 2
      - 0
    .max_flat_workgroup_size: 1024
    .name:           _ZN2at6native31matrix_to_m16n8k16_Bint4_layoutILi4EEEvN5torch10headeronly6detail27GenericPackedTensorAccessorINS4_14TensorAccessorIN3c108ArrayRefIlEEhLm1ENS3_17RestrictPtrTraitsEiEENS_6detail16IndexBoundsCheckILm2EiEEhLm2ESA_iEENS5_INS6_IS9_iLm3ESA_iEENSD_ILm4EiEEiLm4ESA_iEE
    .private_segment_fixed_size: 0
    .sgpr_count:     18
    .sgpr_spill_count: 0
    .symbol:         _ZN2at6native31matrix_to_m16n8k16_Bint4_layoutILi4EEEvN5torch10headeronly6detail27GenericPackedTensorAccessorINS4_14TensorAccessorIN3c108ArrayRefIlEEhLm1ENS3_17RestrictPtrTraitsEiEENS_6detail16IndexBoundsCheckILm2EiEEhLm2ESA_iEENS5_INS6_IS9_iLm3ESA_iEENSD_ILm4EiEEiLm4ESA_iEE.kd
    .uniform_work_group_size: 1
    .uses_dynamic_stack: false
    .vgpr_count:     12
    .vgpr_spill_count: 0
    .wavefront_size: 64
  - .agpr_count:     0
    .args:
      - .offset:         0
        .size:           24
        .value_kind:     by_value
      - .offset:         24
        .size:           40
        .value_kind:     by_value
    .group_segment_fixed_size: 0
    .kernarg_segment_align: 8
    .kernarg_segment_size: 64
    .language:       OpenCL C
    .language_version:
      - 2
      - 0
    .max_flat_workgroup_size: 1024
    .name:           _ZN2at6native31matrix_to_m16n8k16_Bint4_layoutILi8EEEvN5torch10headeronly6detail27GenericPackedTensorAccessorINS4_14TensorAccessorIN3c108ArrayRefIlEEhLm1ENS3_17RestrictPtrTraitsEiEENS_6detail16IndexBoundsCheckILm2EiEEhLm2ESA_iEENS5_INS6_IS9_iLm3ESA_iEENSD_ILm4EiEEiLm4ESA_iEE
    .private_segment_fixed_size: 0
    .sgpr_count:     18
    .sgpr_spill_count: 0
    .symbol:         _ZN2at6native31matrix_to_m16n8k16_Bint4_layoutILi8EEEvN5torch10headeronly6detail27GenericPackedTensorAccessorINS4_14TensorAccessorIN3c108ArrayRefIlEEhLm1ENS3_17RestrictPtrTraitsEiEENS_6detail16IndexBoundsCheckILm2EiEEhLm2ESA_iEENS5_INS6_IS9_iLm3ESA_iEENSD_ILm4EiEEiLm4ESA_iEE.kd
    .uniform_work_group_size: 1
    .uses_dynamic_stack: false
    .vgpr_count:     14
    .vgpr_spill_count: 0
    .wavefront_size: 64
amdhsa.target:   amdgcn-amd-amdhsa--gfx950
amdhsa.version:
  - 1
  - 2
...

	.end_amdgpu_metadata
